;; amdgpu-corpus repo=ROCm/hipCUB kind=compiled arch=gfx906 opt=O3
	.amdgcn_target "amdgcn-amd-amdhsa--gfx906"
	.amdhsa_code_object_version 6
	.section	.text._Z15sort_key_kernelILj255ELj1ELb1ELb0EN10test_utils16custom_test_typeIhEEEvPT3_jj,"axG",@progbits,_Z15sort_key_kernelILj255ELj1ELb1ELb0EN10test_utils16custom_test_typeIhEEEvPT3_jj,comdat
	.protected	_Z15sort_key_kernelILj255ELj1ELb1ELb0EN10test_utils16custom_test_typeIhEEEvPT3_jj ; -- Begin function _Z15sort_key_kernelILj255ELj1ELb1ELb0EN10test_utils16custom_test_typeIhEEEvPT3_jj
	.globl	_Z15sort_key_kernelILj255ELj1ELb1ELb0EN10test_utils16custom_test_typeIhEEEvPT3_jj
	.p2align	8
	.type	_Z15sort_key_kernelILj255ELj1ELb1ELb0EN10test_utils16custom_test_typeIhEEEvPT3_jj,@function
_Z15sort_key_kernelILj255ELj1ELb1ELb0EN10test_utils16custom_test_typeIhEEEvPT3_jj: ; @_Z15sort_key_kernelILj255ELj1ELb1ELb0EN10test_utils16custom_test_typeIhEEEvPT3_jj
; %bb.0:
	s_load_dwordx4 s[36:39], s[4:5], 0x0
	s_mul_i32 s40, s6, 0xff
	s_mov_b32 s41, 0
	s_lshl_b64 s[0:1], s[40:41], 1
	v_lshlrev_b32_e32 v16, 1, v0
	s_waitcnt lgkmcnt(0)
	s_add_u32 s34, s36, s0
	s_addc_u32 s35, s37, s1
	global_load_ushort v15, v16, s[34:35]
	s_cmp_lg_u32 s38, 0
	s_cselect_b64 s[4:5], -1, 0
	s_cmp_lg_u32 s39, 16
	s_cselect_b64 s[6:7], -1, 0
	s_or_b64 s[4:5], s[4:5], s[6:7]
	s_movk_i32 s33, 0xff
	v_mov_b32_e32 v9, 0
	v_mbcnt_lo_u32_b32 v17, -1, 0
	v_lshlrev_b32_e32 v11, 5, v0
	v_cmp_gt_u32_e64 s[0:1], 4, v0
	v_cmp_lt_u32_e64 s[2:3], 63, v0
	v_lshrrev_b32_e32 v14, 4, v0
	v_lshlrev_b32_e32 v12, 2, v0
	v_mov_b32_e32 v10, s35
	s_and_b64 vcc, exec, s[4:5]
	s_waitcnt vmcnt(0)
	v_lshrrev_b16_e32 v18, 8, v15
	s_cbranch_vccz .LBB0_18
; %bb.1:
	v_mbcnt_hi_u32_b32 v1, -1, v17
	v_and_b32_e32 v2, 15, v1
	v_cmp_eq_u32_e64 s[4:5], 0, v2
	v_cmp_lt_u32_e64 s[6:7], 1, v2
	v_cmp_lt_u32_e64 s[8:9], 3, v2
	v_cmp_lt_u32_e64 s[10:11], 7, v2
	v_and_b32_e32 v2, 16, v1
	v_cmp_eq_u32_e64 s[12:13], 0, v2
	v_and_b32_e32 v2, 0xc0, v0
	v_min_u32_e32 v2, 0xbf, v2
	v_add_u32_e32 v2, 63, v2
	v_cmp_eq_u32_e64 s[16:17], v0, v2
	v_subrev_co_u32_e64 v2, s[18:19], 1, v1
	v_and_b32_e32 v3, 64, v1
	v_cmp_lt_i32_e32 vcc, v2, v3
	v_sub_u32_e32 v13, v12, v16
	v_cmp_lt_u32_e64 s[14:15], 31, v1
	v_cndmask_b32_e32 v2, v2, v1, vcc
	v_and_b32_e32 v1, 3, v1
	s_movk_i32 s24, 0x3fc
	s_movk_i32 s26, 0x2fd
	;; [unrolled: 1-line block ×3, first 2 shown]
	s_sub_i32 s35, 0, s38
	s_sub_i32 s40, s39, s38
	v_add_u32_e32 v21, v13, v16
	v_lshlrev_b32_e32 v19, 2, v2
	v_and_b32_e32 v20, 12, v14
	v_cmp_eq_u32_e64 s[20:21], 0, v1
	v_cmp_lt_u32_e64 s[22:23], 1, v1
	v_cmp_gt_u32_e64 s[24:25], s24, v0
	v_cmp_gt_u32_e64 s[26:27], s26, v0
	;; [unrolled: 1-line block ×4, first 2 shown]
	v_add_u32_e32 v22, 0x7f8, v21
	v_mov_b32_e32 v23, 1
	s_mov_b32 s42, s40
	s_mov_b32 s43, s35
	v_mov_b32_e32 v25, v18
	v_mov_b32_e32 v24, v15
	s_branch .LBB0_3
.LBB0_2:                                ;   in Loop: Header=BB0_3 Depth=1
	s_andn2_b64 vcc, exec, s[36:37]
	s_cbranch_vccz .LBB0_19
.LBB0_3:                                ; =>This Inner Loop Header: Depth=1
	ds_write2_b32 v21, v9, v9 offset1:255
	ds_write2_b32 v22, v9, v9 offset1:255
	s_and_saveexec_b64 s[36:37], s[24:25]
	s_cbranch_execz .LBB0_8
; %bb.4:                                ;   in Loop: Header=BB0_3 Depth=1
	ds_write_b32 v21, v9 offset:4080
	s_and_b64 exec, exec, s[26:27]
	s_cbranch_execz .LBB0_8
; %bb.5:                                ;   in Loop: Header=BB0_3 Depth=1
	ds_write_b32 v21, v9 offset:5100
	s_and_b64 exec, exec, s[28:29]
	;; [unrolled: 4-line block ×3, first 2 shown]
; %bb.7:                                ;   in Loop: Header=BB0_3 Depth=1
	ds_write_b32 v21, v9 offset:7140
.LBB0_8:                                ;   in Loop: Header=BB0_3 Depth=1
	s_or_b64 exec, exec, s[36:37]
	s_max_i32 s37, s38, 0
	s_max_i32 s36, s43, 0
	s_min_u32 s44, s42, 4
	s_sub_i32 s48, s37, s36
	s_add_i32 s36, s35, s41
	s_add_i32 s49, s44, s38
	s_cmp_lt_i32 s38, 8
	s_cselect_b64 s[44:45], -1, 0
	s_cmp_gt_i32 s49, 0
	s_cselect_b64 s[46:47], -1, 0
	s_add_i32 s48, s36, s48
	s_add_i32 s48, s48, s49
	s_min_i32 s48, s48, 8
	s_max_i32 s50, s36, 0
	s_sub_i32 s48, s48, s37
	s_and_b64 vcc, s[44:45], s[46:47]
	s_cmp_lt_i32 s38, 16
	v_lshrrev_b32_sdwa v1, s37, v25 dst_sel:DWORD dst_unused:UNUSED_PAD src0_sel:DWORD src1_sel:BYTE_0
	s_cselect_b64 s[44:45], -1, 0
	s_cmp_gt_i32 s49, 8
	v_bfe_u32 v1, v1, 0, s48
	s_cselect_b64 s[46:47], -1, 0
	v_lshlrev_b32_e32 v1, s50, v1
	s_and_b64 s[44:45], s[44:45], s[46:47]
	v_cndmask_b32_e32 v1, 0, v1, vcc
	s_and_b64 vcc, exec, s[44:45]
	s_cbranch_vccz .LBB0_10
; %bb.9:                                ;   in Loop: Header=BB0_3 Depth=1
	s_add_i32 s37, s40, s41
	s_max_i32 s44, s38, 8
	s_min_u32 s37, s37, 4
	s_add_i32 s44, s44, -8
	s_add_i32 s36, s36, 8
	s_add_i32 s37, s44, s37
	s_max_i32 s36, s36, 0
	s_sub_i32 s37, s37, s36
	s_min_i32 s37, s37, 8
	s_sub_i32 s37, s37, s44
	v_lshrrev_b32_sdwa v2, s44, v24 dst_sel:DWORD dst_unused:UNUSED_PAD src0_sel:DWORD src1_sel:BYTE_0
	v_bfe_u32 v2, v2, 0, s37
	v_lshl_or_b32 v1, v2, s36, v1
.LBB0_10:                               ;   in Loop: Header=BB0_3 Depth=1
	v_and_b32_e32 v2, 7, v1
	v_lshrrev_b32_e32 v1, 2, v1
	v_mad_u32_u24 v2, v2, s33, v0
	v_and_b32_e32 v1, 0x3ffffffe, v1
	v_lshl_add_u32 v27, v2, 2, v1
	ds_read_u16 v26, v27
	s_waitcnt lgkmcnt(0)
	v_add_u16_e32 v1, 1, v26
	ds_write_b16 v27, v1
	s_waitcnt lgkmcnt(0)
	s_barrier
	ds_read2_b64 v[5:8], v11 offset1:1
	ds_read2_b64 v[1:4], v11 offset0:2 offset1:3
	s_waitcnt lgkmcnt(1)
	v_add_u32_e32 v28, v6, v5
	v_add3_u32 v28, v28, v7, v8
	s_waitcnt lgkmcnt(0)
	v_add3_u32 v28, v28, v1, v2
	v_add3_u32 v4, v28, v3, v4
	s_nop 1
	v_mov_b32_dpp v28, v4 row_shr:1 row_mask:0xf bank_mask:0xf
	v_cndmask_b32_e64 v28, v28, 0, s[4:5]
	v_add_u32_e32 v4, v28, v4
	s_nop 1
	v_mov_b32_dpp v28, v4 row_shr:2 row_mask:0xf bank_mask:0xf
	v_cndmask_b32_e64 v28, 0, v28, s[6:7]
	v_add_u32_e32 v4, v4, v28
	s_nop 1
	v_mov_b32_dpp v28, v4 row_shr:4 row_mask:0xf bank_mask:0xf
	v_cndmask_b32_e64 v28, 0, v28, s[8:9]
	v_add_u32_e32 v4, v4, v28
	s_nop 1
	v_mov_b32_dpp v28, v4 row_shr:8 row_mask:0xf bank_mask:0xf
	v_cndmask_b32_e64 v28, 0, v28, s[10:11]
	v_add_u32_e32 v4, v4, v28
	s_nop 1
	v_mov_b32_dpp v28, v4 row_bcast:15 row_mask:0xf bank_mask:0xf
	v_cndmask_b32_e64 v28, v28, 0, s[12:13]
	v_add_u32_e32 v4, v4, v28
	s_nop 1
	v_mov_b32_dpp v28, v4 row_bcast:31 row_mask:0xf bank_mask:0xf
	v_cndmask_b32_e64 v28, 0, v28, s[14:15]
	v_add_u32_e32 v4, v4, v28
	s_and_saveexec_b64 s[36:37], s[16:17]
	s_xor_b64 s[36:37], exec, s[36:37]
; %bb.11:                               ;   in Loop: Header=BB0_3 Depth=1
	ds_write_b32 v20, v4 offset:8160
; %bb.12:                               ;   in Loop: Header=BB0_3 Depth=1
	s_or_b64 exec, exec, s[36:37]
	s_waitcnt lgkmcnt(0)
	s_barrier
	s_and_saveexec_b64 s[36:37], s[0:1]
	s_cbranch_execz .LBB0_14
; %bb.13:                               ;   in Loop: Header=BB0_3 Depth=1
	ds_read_b32 v28, v12 offset:8160
	s_waitcnt lgkmcnt(0)
	s_nop 0
	v_mov_b32_dpp v29, v28 row_shr:1 row_mask:0xf bank_mask:0xf
	v_cndmask_b32_e64 v29, v29, 0, s[20:21]
	v_add_u32_e32 v28, v29, v28
	s_nop 1
	v_mov_b32_dpp v29, v28 row_shr:2 row_mask:0xf bank_mask:0xf
	v_cndmask_b32_e64 v29, 0, v29, s[22:23]
	v_add_u32_e32 v28, v28, v29
	ds_write_b32 v12, v28 offset:8160
.LBB0_14:                               ;   in Loop: Header=BB0_3 Depth=1
	s_or_b64 exec, exec, s[36:37]
	v_mov_b32_e32 v28, 0
	s_waitcnt lgkmcnt(0)
	s_barrier
	s_and_saveexec_b64 s[36:37], s[2:3]
; %bb.15:                               ;   in Loop: Header=BB0_3 Depth=1
	ds_read_b32 v28, v20 offset:8156
; %bb.16:                               ;   in Loop: Header=BB0_3 Depth=1
	s_or_b64 exec, exec, s[36:37]
	s_waitcnt lgkmcnt(0)
	v_add_u32_e32 v4, v28, v4
	ds_bpermute_b32 v29, v19, v4
	ds_read_b32 v30, v9 offset:8172
	v_lshlrev_b16_e32 v4, 8, v25
	v_or_b32_sdwa v4, v4, v24 dst_sel:DWORD dst_unused:UNUSED_PAD src0_sel:DWORD src1_sel:BYTE_0
	s_add_i32 s38, s38, 4
	s_waitcnt lgkmcnt(1)
	v_cndmask_b32_e64 v24, v29, v28, s[18:19]
	s_waitcnt lgkmcnt(0)
	v_lshl_add_u32 v24, v30, 16, v24
	v_add_u32_e32 v25, v24, v5
	v_add_u32_e32 v5, v25, v6
	;; [unrolled: 1-line block ×7, first 2 shown]
	ds_write2_b64 v11, v[24:25], v[5:6] offset1:1
	ds_write2_b64 v11, v[7:8], v[1:2] offset0:2 offset1:3
	s_waitcnt lgkmcnt(0)
	s_barrier
	ds_read_u16 v1, v27
	v_lshlrev_b32_sdwa v2, v23, v26 dst_sel:DWORD dst_unused:UNUSED_PAD src0_sel:DWORD src1_sel:WORD_0
	s_cmp_ge_u32 s38, s39
	s_mov_b64 s[36:37], -1
	s_waitcnt lgkmcnt(0)
	v_lshl_add_u32 v1, v1, 1, v2
                                        ; implicit-def: $vgpr24
                                        ; implicit-def: $vgpr25
	s_cbranch_scc1 .LBB0_2
; %bb.17:                               ;   in Loop: Header=BB0_3 Depth=1
	s_barrier
	ds_write_b16 v1, v4
	s_waitcnt lgkmcnt(0)
	s_barrier
	ds_read_u16 v24, v13
	s_add_i32 s41, s41, -4
	s_add_i32 s43, s43, -4
	;; [unrolled: 1-line block ×3, first 2 shown]
	s_mov_b64 s[36:37], 0
	s_waitcnt lgkmcnt(0)
	v_lshrrev_b16_e32 v25, 8, v24
	s_barrier
	s_branch .LBB0_2
.LBB0_18:
                                        ; implicit-def: $vgpr13
	v_add_co_u32_e32 v9, vcc, s34, v16
	v_addc_co_u32_e32 v10, vcc, 0, v10, vcc
	s_cbranch_execnz .LBB0_20
	s_branch .LBB0_65
.LBB0_19:
	s_barrier
	ds_write_b16 v1, v4
	s_waitcnt lgkmcnt(0)
	s_barrier
	v_add_co_u32_e32 v9, vcc, s34, v16
	v_addc_co_u32_e32 v10, vcc, 0, v10, vcc
	s_branch .LBB0_65
.LBB0_20:
	s_movk_i32 s0, 0xffe4
	v_mad_i32_i24 v13, v0, s0, v11
	s_movk_i32 s0, 0x3fc
	v_mov_b32_e32 v1, 0
	v_add_u32_e32 v2, 0x7f8, v13
	v_cmp_gt_u32_e64 s[0:1], s0, v0
	ds_write2_b32 v13, v1, v1 offset1:255
	ds_write2_b32 v2, v1, v1 offset1:255
	s_and_saveexec_b64 s[2:3], s[0:1]
	s_cbranch_execz .LBB0_25
; %bb.21:
	s_movk_i32 s4, 0x2fd
	v_cmp_gt_u32_e32 vcc, s4, v0
	ds_write_b32 v13, v1 offset:4080
	s_and_b64 exec, exec, vcc
	s_cbranch_execz .LBB0_25
; %bb.22:
	s_movk_i32 s4, 0x1fe
	v_mov_b32_e32 v1, 0
	v_cmp_gt_u32_e32 vcc, s4, v0
	ds_write_b32 v13, v1 offset:5100
	s_and_b64 exec, exec, vcc
	s_cbranch_execz .LBB0_25
; %bb.23:
	s_movk_i32 s4, 0xff
	v_cmp_gt_u32_e32 vcc, s4, v0
	ds_write_b32 v13, v1 offset:6120
	s_and_b64 exec, exec, vcc
; %bb.24:
	v_mov_b32_e32 v1, 0
	ds_write_b32 v13, v1 offset:7140
.LBB0_25:
	s_or_b64 exec, exec, s[2:3]
	v_and_b32_e32 v1, 15, v18
	v_mov_b32_e32 v2, 7
	v_mov_b32_e32 v3, 2
	v_and_b32_sdwa v2, v1, v2 dst_sel:DWORD dst_unused:UNUSED_PAD src0_sel:WORD_0 src1_sel:DWORD
	s_movk_i32 s2, 0xff
	v_lshrrev_b32_sdwa v1, v3, v1 dst_sel:DWORD dst_unused:UNUSED_PAD src0_sel:DWORD src1_sel:WORD_0
	v_mad_u32_u24 v2, v2, s2, v0
	v_and_b32_e32 v1, 2, v1
	v_lshl_or_b32 v21, v2, 2, v1
	ds_read_u16 v19, v21
	v_mbcnt_hi_u32_b32 v20, -1, v17
	v_and_b32_e32 v1, 16, v20
	v_cmp_eq_u32_e32 vcc, 0, v1
	v_and_b32_e32 v2, 0xc0, v0
	s_waitcnt lgkmcnt(0)
	v_add_u16_e32 v1, 1, v19
	ds_write_b16 v21, v1
	s_waitcnt lgkmcnt(0)
	s_barrier
	ds_read2_b64 v[5:8], v11 offset1:1
	v_min_u32_e32 v2, 0xbf, v2
	v_add_u32_e32 v23, 63, v2
	ds_read2_b64 v[1:4], v11 offset0:2 offset1:3
	v_cmp_eq_u32_e64 s[2:3], v0, v23
	s_waitcnt lgkmcnt(1)
	v_add_u32_e32 v23, v6, v5
	v_add3_u32 v23, v23, v7, v8
	v_and_b32_e32 v17, 15, v20
	s_waitcnt lgkmcnt(0)
	v_add3_u32 v23, v23, v1, v2
	v_add3_u32 v4, v23, v3, v4
	v_cmp_eq_u32_e64 s[8:9], 0, v17
	v_cmp_lt_u32_e64 s[10:11], 1, v17
	v_mov_b32_dpp v23, v4 row_shr:1 row_mask:0xf bank_mask:0xf
	v_cndmask_b32_e64 v23, v23, 0, s[8:9]
	v_add_u32_e32 v4, v23, v4
	v_cmp_lt_u32_e64 s[12:13], 3, v17
	v_cmp_lt_u32_e64 s[14:15], 7, v17
	v_mov_b32_dpp v23, v4 row_shr:2 row_mask:0xf bank_mask:0xf
	v_cndmask_b32_e64 v23, 0, v23, s[10:11]
	v_add_u32_e32 v4, v4, v23
	v_bfe_i32 v22, v20, 4, 1
	v_cmp_lt_u32_e64 s[18:19], 31, v20
	v_mov_b32_dpp v23, v4 row_shr:4 row_mask:0xf bank_mask:0xf
	v_cndmask_b32_e64 v23, 0, v23, s[12:13]
	v_add_u32_e32 v4, v4, v23
	v_and_b32_e32 v14, 12, v14
	s_nop 0
	v_mov_b32_dpp v23, v4 row_shr:8 row_mask:0xf bank_mask:0xf
	v_cndmask_b32_e64 v17, 0, v23, s[14:15]
	v_add_u32_e32 v4, v4, v17
	s_nop 1
	v_mov_b32_dpp v17, v4 row_bcast:15 row_mask:0xf bank_mask:0xf
	v_and_b32_e32 v17, v22, v17
	v_add_u32_e32 v4, v4, v17
	s_nop 1
	v_mov_b32_dpp v17, v4 row_bcast:31 row_mask:0xf bank_mask:0xf
	v_cndmask_b32_e64 v17, 0, v17, s[18:19]
	v_add_u32_e32 v22, v4, v17
	s_and_saveexec_b64 s[4:5], s[2:3]
; %bb.26:
	ds_write_b32 v14, v22 offset:8160
; %bb.27:
	s_or_b64 exec, exec, s[4:5]
	v_and_b32_e32 v4, 3, v20
	v_sub_u32_e32 v13, v13, v16
	v_cmp_gt_u32_e64 s[16:17], 4, v0
	v_cmp_lt_u32_e64 s[4:5], 1, v4
	v_cmp_eq_u32_e64 s[6:7], 0, v4
	v_add_u32_e32 v16, v13, v16
	s_waitcnt lgkmcnt(0)
	s_barrier
	s_and_saveexec_b64 s[20:21], s[16:17]
	s_cbranch_execz .LBB0_29
; %bb.28:
	ds_read_b32 v4, v16 offset:8160
	s_waitcnt lgkmcnt(0)
	s_nop 0
	v_mov_b32_dpp v17, v4 row_shr:1 row_mask:0xf bank_mask:0xf
	v_cndmask_b32_e64 v17, v17, 0, s[6:7]
	v_add_u32_e32 v4, v17, v4
	s_nop 1
	v_mov_b32_dpp v17, v4 row_shr:2 row_mask:0xf bank_mask:0xf
	v_cndmask_b32_e64 v17, 0, v17, s[4:5]
	v_add_u32_e32 v4, v4, v17
	ds_write_b32 v16, v4 offset:8160
.LBB0_29:
	s_or_b64 exec, exec, s[20:21]
	v_cmp_lt_u32_e64 s[20:21], 63, v0
	v_mov_b32_e32 v4, 0
	v_mov_b32_e32 v23, 0
	s_waitcnt lgkmcnt(0)
	s_barrier
	s_and_saveexec_b64 s[22:23], s[20:21]
; %bb.30:
	ds_read_b32 v23, v14 offset:8156
; %bb.31:
	s_or_b64 exec, exec, s[22:23]
	v_add_u32_e32 v17, -1, v20
	v_and_b32_e32 v24, 64, v20
	v_cmp_lt_i32_e64 s[22:23], v17, v24
	v_cndmask_b32_e64 v17, v17, v20, s[22:23]
	v_lshlrev_b32_e32 v17, 2, v17
	s_waitcnt lgkmcnt(0)
	v_add_u32_e32 v22, v23, v22
	ds_bpermute_b32 v22, v17, v22
	ds_read_b32 v24, v4 offset:8172
	v_lshlrev_b16_e32 v18, 8, v18
	v_cmp_eq_u32_e64 s[22:23], 0, v20
	v_or_b32_sdwa v15, v18, v15 dst_sel:DWORD dst_unused:UNUSED_PAD src0_sel:DWORD src1_sel:BYTE_0
	s_waitcnt lgkmcnt(1)
	v_cndmask_b32_e64 v18, v22, v23, s[22:23]
	s_waitcnt lgkmcnt(0)
	v_lshl_add_u32 v22, v24, 16, v18
	v_add_u32_e32 v23, v22, v5
	v_add_u32_e32 v5, v23, v6
	;; [unrolled: 1-line block ×7, first 2 shown]
	ds_write2_b64 v11, v[22:23], v[5:6] offset1:1
	ds_write2_b64 v11, v[7:8], v[1:2] offset0:2 offset1:3
	s_waitcnt lgkmcnt(0)
	s_barrier
	ds_read_u16 v1, v21
	v_mov_b32_e32 v2, 1
	v_lshlrev_b32_sdwa v2, v2, v19 dst_sel:DWORD dst_unused:UNUSED_PAD src0_sel:DWORD src1_sel:WORD_0
	s_waitcnt lgkmcnt(0)
	s_barrier
	v_lshl_add_u32 v1, v1, 1, v2
	ds_write_b16 v1, v15
	s_waitcnt lgkmcnt(0)
	s_barrier
	ds_read_u16 v15, v13
	s_movk_i32 s28, 0xff
	v_add_u32_e32 v1, 0x7f8, v12
	s_waitcnt lgkmcnt(0)
	s_barrier
	ds_write2_b32 v12, v4, v4 offset1:255
	ds_write2_b32 v1, v4, v4 offset1:255
	s_and_saveexec_b64 s[26:27], s[0:1]
	s_cbranch_execz .LBB0_36
; %bb.32:
	s_movk_i32 s24, 0x2fd
	v_mov_b32_e32 v1, 0
	v_cmp_gt_u32_e64 s[24:25], s24, v0
	ds_write_b32 v12, v1 offset:4080
	s_and_b64 exec, exec, s[24:25]
	s_cbranch_execz .LBB0_36
; %bb.33:
	s_movk_i32 s24, 0x1fe
	v_cmp_gt_u32_e64 s[24:25], s24, v0
	ds_write_b32 v12, v1 offset:5100
	s_and_b64 exec, exec, s[24:25]
	s_cbranch_execz .LBB0_36
; %bb.34:
	s_movk_i32 s24, 0xff
	v_mov_b32_e32 v1, 0
	v_cmp_gt_u32_e64 s[24:25], s24, v0
	ds_write_b32 v12, v1 offset:6120
	s_and_b64 exec, exec, s[24:25]
; %bb.35:
	ds_write_b32 v12, v1 offset:7140
.LBB0_36:
	s_or_b64 exec, exec, s[26:27]
	v_mov_b32_e32 v1, 4
	v_lshrrev_b16_sdwa v1, v1, v15 dst_sel:DWORD dst_unused:UNUSED_PAD src0_sel:DWORD src1_sel:BYTE_1
	v_and_b32_e32 v2, 7, v1
	v_lshrrev_b32_e32 v1, 2, v1
	v_mad_u32_u24 v2, v2, s28, v0
	v_and_b32_e32 v1, 2, v1
	v_lshl_or_b32 v19, v2, 2, v1
	ds_read_u16 v18, v19
	s_waitcnt lgkmcnt(0)
	v_add_u16_e32 v1, 1, v18
	ds_write_b16 v19, v1
	s_waitcnt lgkmcnt(0)
	s_barrier
	ds_read2_b64 v[5:8], v11 offset1:1
	ds_read2_b64 v[1:4], v11 offset0:2 offset1:3
	s_waitcnt lgkmcnt(1)
	v_add_u32_e32 v20, v6, v5
	v_add3_u32 v20, v20, v7, v8
	s_waitcnt lgkmcnt(0)
	v_add3_u32 v20, v20, v1, v2
	v_add3_u32 v4, v20, v3, v4
	s_nop 1
	v_mov_b32_dpp v20, v4 row_shr:1 row_mask:0xf bank_mask:0xf
	v_cndmask_b32_e64 v20, v20, 0, s[8:9]
	v_add_u32_e32 v4, v20, v4
	s_nop 1
	v_mov_b32_dpp v20, v4 row_shr:2 row_mask:0xf bank_mask:0xf
	v_cndmask_b32_e64 v20, 0, v20, s[10:11]
	v_add_u32_e32 v4, v4, v20
	s_nop 1
	v_mov_b32_dpp v20, v4 row_shr:4 row_mask:0xf bank_mask:0xf
	v_cndmask_b32_e64 v20, 0, v20, s[12:13]
	v_add_u32_e32 v4, v4, v20
	s_nop 1
	v_mov_b32_dpp v20, v4 row_shr:8 row_mask:0xf bank_mask:0xf
	v_cndmask_b32_e64 v20, 0, v20, s[14:15]
	v_add_u32_e32 v4, v4, v20
	s_nop 1
	v_mov_b32_dpp v20, v4 row_bcast:15 row_mask:0xf bank_mask:0xf
	v_cndmask_b32_e64 v20, v20, 0, vcc
	v_add_u32_e32 v4, v4, v20
	s_nop 1
	v_mov_b32_dpp v20, v4 row_bcast:31 row_mask:0xf bank_mask:0xf
	v_cndmask_b32_e64 v20, 0, v20, s[18:19]
	v_add_u32_e32 v20, v4, v20
	s_and_saveexec_b64 s[24:25], s[2:3]
; %bb.37:
	ds_write_b32 v14, v20 offset:8160
; %bb.38:
	s_or_b64 exec, exec, s[24:25]
	s_waitcnt lgkmcnt(0)
	s_barrier
	s_and_saveexec_b64 s[24:25], s[16:17]
	s_cbranch_execz .LBB0_40
; %bb.39:
	ds_read_b32 v4, v16 offset:8160
	s_waitcnt lgkmcnt(0)
	s_nop 0
	v_mov_b32_dpp v21, v4 row_shr:1 row_mask:0xf bank_mask:0xf
	v_cndmask_b32_e64 v21, v21, 0, s[6:7]
	v_add_u32_e32 v4, v21, v4
	s_nop 1
	v_mov_b32_dpp v21, v4 row_shr:2 row_mask:0xf bank_mask:0xf
	v_cndmask_b32_e64 v21, 0, v21, s[4:5]
	v_add_u32_e32 v4, v4, v21
	ds_write_b32 v16, v4 offset:8160
.LBB0_40:
	s_or_b64 exec, exec, s[24:25]
	v_mov_b32_e32 v4, 0
	v_mov_b32_e32 v21, 0
	s_waitcnt lgkmcnt(0)
	s_barrier
	s_and_saveexec_b64 s[24:25], s[20:21]
; %bb.41:
	ds_read_b32 v21, v14 offset:8156
; %bb.42:
	s_or_b64 exec, exec, s[24:25]
	s_waitcnt lgkmcnt(0)
	v_add_u32_e32 v20, v21, v20
	ds_bpermute_b32 v20, v17, v20
	ds_read_b32 v22, v4 offset:8172
	v_mov_b32_e32 v23, 8
	v_lshlrev_b16_sdwa v23, v23, v15 dst_sel:DWORD dst_unused:UNUSED_PAD src0_sel:DWORD src1_sel:BYTE_1
	v_or_b32_sdwa v15, v23, v15 dst_sel:DWORD dst_unused:UNUSED_PAD src0_sel:DWORD src1_sel:BYTE_0
	s_waitcnt lgkmcnt(1)
	v_cndmask_b32_e64 v20, v20, v21, s[22:23]
	s_waitcnt lgkmcnt(0)
	v_lshl_add_u32 v20, v22, 16, v20
	v_add_u32_e32 v21, v20, v5
	v_add_u32_e32 v5, v21, v6
	;; [unrolled: 1-line block ×7, first 2 shown]
	ds_write2_b64 v11, v[20:21], v[5:6] offset1:1
	ds_write2_b64 v11, v[7:8], v[1:2] offset0:2 offset1:3
	s_waitcnt lgkmcnt(0)
	s_barrier
	ds_read_u16 v1, v19
	v_mov_b32_e32 v2, 1
	v_lshlrev_b32_sdwa v2, v2, v18 dst_sel:DWORD dst_unused:UNUSED_PAD src0_sel:DWORD src1_sel:WORD_0
	s_waitcnt lgkmcnt(0)
	s_barrier
	v_lshl_add_u32 v1, v1, 1, v2
	ds_write_b16 v1, v15
	s_waitcnt lgkmcnt(0)
	s_barrier
	ds_read_u16 v15, v13
	v_add_u32_e32 v1, 0x7f8, v12
	s_waitcnt lgkmcnt(0)
	s_barrier
	ds_write2_b32 v12, v4, v4 offset1:255
	ds_write2_b32 v1, v4, v4 offset1:255
	s_and_saveexec_b64 s[26:27], s[0:1]
	s_cbranch_execz .LBB0_47
; %bb.43:
	s_movk_i32 s24, 0x2fd
	v_mov_b32_e32 v1, 0
	v_cmp_gt_u32_e64 s[24:25], s24, v0
	ds_write_b32 v12, v1 offset:4080
	s_and_b64 exec, exec, s[24:25]
	s_cbranch_execz .LBB0_47
; %bb.44:
	s_movk_i32 s24, 0x1fe
	v_cmp_gt_u32_e64 s[24:25], s24, v0
	ds_write_b32 v12, v1 offset:5100
	s_and_b64 exec, exec, s[24:25]
	s_cbranch_execz .LBB0_47
; %bb.45:
	s_movk_i32 s24, 0xff
	v_mov_b32_e32 v1, 0
	v_cmp_gt_u32_e64 s[24:25], s24, v0
	ds_write_b32 v12, v1 offset:6120
	s_and_b64 exec, exec, s[24:25]
; %bb.46:
	ds_write_b32 v12, v1 offset:7140
.LBB0_47:
	s_or_b64 exec, exec, s[26:27]
	v_and_b32_e32 v1, 15, v15
	v_mov_b32_e32 v2, 7
	v_mov_b32_e32 v3, 2
	v_and_b32_sdwa v2, v1, v2 dst_sel:DWORD dst_unused:UNUSED_PAD src0_sel:WORD_0 src1_sel:DWORD
	v_lshrrev_b32_sdwa v1, v3, v1 dst_sel:DWORD dst_unused:UNUSED_PAD src0_sel:DWORD src1_sel:WORD_0
	v_mad_u32_u24 v2, v2, s28, v0
	v_and_b32_e32 v1, 2, v1
	v_lshl_or_b32 v19, v2, 2, v1
	ds_read_u16 v18, v19
	s_waitcnt lgkmcnt(0)
	v_add_u16_e32 v1, 1, v18
	ds_write_b16 v19, v1
	s_waitcnt lgkmcnt(0)
	s_barrier
	ds_read2_b64 v[5:8], v11 offset1:1
	ds_read2_b64 v[1:4], v11 offset0:2 offset1:3
	s_waitcnt lgkmcnt(1)
	v_add_u32_e32 v20, v6, v5
	v_add3_u32 v20, v20, v7, v8
	s_waitcnt lgkmcnt(0)
	v_add3_u32 v20, v20, v1, v2
	v_add3_u32 v4, v20, v3, v4
	s_nop 1
	v_mov_b32_dpp v20, v4 row_shr:1 row_mask:0xf bank_mask:0xf
	v_cndmask_b32_e64 v20, v20, 0, s[8:9]
	v_add_u32_e32 v4, v20, v4
	s_nop 1
	v_mov_b32_dpp v20, v4 row_shr:2 row_mask:0xf bank_mask:0xf
	v_cndmask_b32_e64 v20, 0, v20, s[10:11]
	v_add_u32_e32 v4, v4, v20
	;; [unrolled: 4-line block ×4, first 2 shown]
	s_nop 1
	v_mov_b32_dpp v20, v4 row_bcast:15 row_mask:0xf bank_mask:0xf
	v_cndmask_b32_e64 v20, v20, 0, vcc
	v_add_u32_e32 v4, v4, v20
	s_nop 1
	v_mov_b32_dpp v20, v4 row_bcast:31 row_mask:0xf bank_mask:0xf
	v_cndmask_b32_e64 v20, 0, v20, s[18:19]
	v_add_u32_e32 v20, v4, v20
	s_and_saveexec_b64 s[24:25], s[2:3]
; %bb.48:
	ds_write_b32 v14, v20 offset:8160
; %bb.49:
	s_or_b64 exec, exec, s[24:25]
	s_waitcnt lgkmcnt(0)
	s_barrier
	s_and_saveexec_b64 s[24:25], s[16:17]
	s_cbranch_execz .LBB0_51
; %bb.50:
	ds_read_b32 v4, v16 offset:8160
	s_waitcnt lgkmcnt(0)
	s_nop 0
	v_mov_b32_dpp v21, v4 row_shr:1 row_mask:0xf bank_mask:0xf
	v_cndmask_b32_e64 v21, v21, 0, s[6:7]
	v_add_u32_e32 v4, v21, v4
	s_nop 1
	v_mov_b32_dpp v21, v4 row_shr:2 row_mask:0xf bank_mask:0xf
	v_cndmask_b32_e64 v21, 0, v21, s[4:5]
	v_add_u32_e32 v4, v4, v21
	ds_write_b32 v16, v4 offset:8160
.LBB0_51:
	s_or_b64 exec, exec, s[24:25]
	v_mov_b32_e32 v4, 0
	v_mov_b32_e32 v21, 0
	s_waitcnt lgkmcnt(0)
	s_barrier
	s_and_saveexec_b64 s[24:25], s[20:21]
; %bb.52:
	ds_read_b32 v21, v14 offset:8156
; %bb.53:
	s_or_b64 exec, exec, s[24:25]
	s_waitcnt lgkmcnt(0)
	v_add_u32_e32 v20, v21, v20
	ds_bpermute_b32 v20, v17, v20
	ds_read_b32 v22, v4 offset:8172
	v_mov_b32_e32 v23, 8
	v_lshlrev_b16_sdwa v23, v23, v15 dst_sel:DWORD dst_unused:UNUSED_PAD src0_sel:DWORD src1_sel:BYTE_1
	v_or_b32_sdwa v15, v23, v15 dst_sel:DWORD dst_unused:UNUSED_PAD src0_sel:DWORD src1_sel:BYTE_0
	s_waitcnt lgkmcnt(1)
	v_cndmask_b32_e64 v20, v20, v21, s[22:23]
	s_waitcnt lgkmcnt(0)
	v_lshl_add_u32 v20, v22, 16, v20
	v_add_u32_e32 v21, v20, v5
	v_add_u32_e32 v5, v21, v6
	;; [unrolled: 1-line block ×7, first 2 shown]
	ds_write2_b64 v11, v[20:21], v[5:6] offset1:1
	ds_write2_b64 v11, v[7:8], v[1:2] offset0:2 offset1:3
	s_waitcnt lgkmcnt(0)
	s_barrier
	ds_read_u16 v1, v19
	v_mov_b32_e32 v2, 1
	v_lshlrev_b32_sdwa v2, v2, v18 dst_sel:DWORD dst_unused:UNUSED_PAD src0_sel:DWORD src1_sel:WORD_0
	s_waitcnt lgkmcnt(0)
	s_barrier
	v_lshl_add_u32 v1, v1, 1, v2
	ds_write_b16 v1, v15
	s_waitcnt lgkmcnt(0)
	s_barrier
	ds_read_u16 v8, v13
	v_add_u32_e32 v1, 0x7f8, v12
	s_waitcnt lgkmcnt(0)
	s_barrier
	ds_write2_b32 v12, v4, v4 offset1:255
	ds_write2_b32 v1, v4, v4 offset1:255
	s_and_saveexec_b64 s[24:25], s[0:1]
	s_cbranch_execz .LBB0_58
; %bb.54:
	s_movk_i32 s0, 0x2fd
	v_mov_b32_e32 v1, 0
	v_cmp_gt_u32_e64 s[0:1], s0, v0
	ds_write_b32 v12, v1 offset:4080
	s_and_b64 exec, exec, s[0:1]
	s_cbranch_execz .LBB0_58
; %bb.55:
	s_movk_i32 s0, 0x1fe
	v_cmp_gt_u32_e64 s[0:1], s0, v0
	ds_write_b32 v12, v1 offset:5100
	s_and_b64 exec, exec, s[0:1]
	s_cbranch_execz .LBB0_58
; %bb.56:
	s_movk_i32 s0, 0xff
	v_mov_b32_e32 v1, 0
	v_cmp_gt_u32_e64 s[0:1], s0, v0
	ds_write_b32 v12, v1 offset:6120
	s_and_b64 exec, exec, s[0:1]
; %bb.57:
	ds_write_b32 v12, v1 offset:7140
.LBB0_58:
	s_or_b64 exec, exec, s[24:25]
	v_mov_b32_e32 v1, 4
	v_lshrrev_b16_sdwa v1, v1, v8 dst_sel:DWORD dst_unused:UNUSED_PAD src0_sel:DWORD src1_sel:BYTE_0
	s_movk_i32 s0, 0xff
	v_and_b32_e32 v2, 7, v1
	v_lshrrev_b32_e32 v1, 2, v1
	v_mad_u32_u24 v0, v2, s0, v0
	v_and_b32_e32 v1, 2, v1
	v_lshl_or_b32 v15, v0, 2, v1
	ds_read_u16 v12, v15
	s_waitcnt lgkmcnt(0)
	v_add_u16_e32 v0, 1, v12
	ds_write_b16 v15, v0
	s_waitcnt lgkmcnt(0)
	s_barrier
	ds_read2_b64 v[4:7], v11 offset1:1
	ds_read2_b64 v[0:3], v11 offset0:2 offset1:3
	s_waitcnt lgkmcnt(1)
	v_add_u32_e32 v18, v5, v4
	v_add3_u32 v18, v18, v6, v7
	s_waitcnt lgkmcnt(0)
	v_add3_u32 v18, v18, v0, v1
	v_add3_u32 v3, v18, v2, v3
	s_nop 1
	v_mov_b32_dpp v18, v3 row_shr:1 row_mask:0xf bank_mask:0xf
	v_cndmask_b32_e64 v18, v18, 0, s[8:9]
	v_add_u32_e32 v3, v18, v3
	s_nop 1
	v_mov_b32_dpp v18, v3 row_shr:2 row_mask:0xf bank_mask:0xf
	v_cndmask_b32_e64 v18, 0, v18, s[10:11]
	v_add_u32_e32 v3, v3, v18
	;; [unrolled: 4-line block ×4, first 2 shown]
	s_nop 1
	v_mov_b32_dpp v18, v3 row_bcast:15 row_mask:0xf bank_mask:0xf
	v_cndmask_b32_e64 v18, v18, 0, vcc
	v_add_u32_e32 v3, v3, v18
	s_nop 1
	v_mov_b32_dpp v18, v3 row_bcast:31 row_mask:0xf bank_mask:0xf
	v_cndmask_b32_e64 v18, 0, v18, s[18:19]
	v_add_u32_e32 v3, v3, v18
	s_and_saveexec_b64 s[0:1], s[2:3]
; %bb.59:
	ds_write_b32 v14, v3 offset:8160
; %bb.60:
	s_or_b64 exec, exec, s[0:1]
	s_waitcnt lgkmcnt(0)
	s_barrier
	s_and_saveexec_b64 s[0:1], s[16:17]
	s_cbranch_execz .LBB0_62
; %bb.61:
	ds_read_b32 v18, v16 offset:8160
	s_waitcnt lgkmcnt(0)
	s_nop 0
	v_mov_b32_dpp v19, v18 row_shr:1 row_mask:0xf bank_mask:0xf
	v_cndmask_b32_e64 v19, v19, 0, s[6:7]
	v_add_u32_e32 v18, v19, v18
	s_nop 1
	v_mov_b32_dpp v19, v18 row_shr:2 row_mask:0xf bank_mask:0xf
	v_cndmask_b32_e64 v19, 0, v19, s[4:5]
	v_add_u32_e32 v18, v18, v19
	ds_write_b32 v16, v18 offset:8160
.LBB0_62:
	s_or_b64 exec, exec, s[0:1]
	v_mov_b32_e32 v18, 0
	v_mov_b32_e32 v16, 0
	s_waitcnt lgkmcnt(0)
	s_barrier
	s_and_saveexec_b64 s[0:1], s[20:21]
; %bb.63:
	ds_read_b32 v16, v14 offset:8156
; %bb.64:
	s_or_b64 exec, exec, s[0:1]
	s_waitcnt lgkmcnt(0)
	v_add_u32_e32 v3, v16, v3
	ds_bpermute_b32 v3, v17, v3
	ds_read_b32 v14, v18 offset:8172
	v_mov_b32_e32 v17, 8
	v_lshlrev_b16_sdwa v17, v17, v8 dst_sel:DWORD dst_unused:UNUSED_PAD src0_sel:DWORD src1_sel:BYTE_1
	v_or_b32_sdwa v17, v17, v8 dst_sel:DWORD dst_unused:UNUSED_PAD src0_sel:DWORD src1_sel:BYTE_0
	s_waitcnt lgkmcnt(1)
	v_cndmask_b32_e64 v3, v3, v16, s[22:23]
	s_waitcnt lgkmcnt(0)
	v_lshl_add_u32 v3, v14, 16, v3
	v_add_u32_e32 v4, v3, v4
	v_add_u32_e32 v5, v4, v5
	;; [unrolled: 1-line block ×7, first 2 shown]
	ds_write2_b64 v11, v[3:4], v[5:6] offset1:1
	ds_write2_b64 v11, v[7:8], v[0:1] offset0:2 offset1:3
	s_waitcnt lgkmcnt(0)
	s_barrier
	ds_read_u16 v0, v15
	v_mov_b32_e32 v1, 1
	v_lshlrev_b32_sdwa v1, v1, v12 dst_sel:DWORD dst_unused:UNUSED_PAD src0_sel:DWORD src1_sel:WORD_0
	s_waitcnt lgkmcnt(0)
	s_barrier
	v_lshl_add_u32 v0, v0, 1, v1
	ds_write_b16 v0, v17
	s_waitcnt lgkmcnt(0)
	s_barrier
.LBB0_65:
	ds_read_u8 v0, v13 offset:1
	ds_read_u8 v1, v13
	s_waitcnt lgkmcnt(1)
	v_lshlrev_b16_e32 v0, 8, v0
	s_waitcnt lgkmcnt(0)
	v_or_b32_e32 v0, v1, v0
	global_store_short v[9:10], v0, off
	s_endpgm
	.section	.rodata,"a",@progbits
	.p2align	6, 0x0
	.amdhsa_kernel _Z15sort_key_kernelILj255ELj1ELb1ELb0EN10test_utils16custom_test_typeIhEEEvPT3_jj
		.amdhsa_group_segment_fixed_size 8176
		.amdhsa_private_segment_fixed_size 0
		.amdhsa_kernarg_size 16
		.amdhsa_user_sgpr_count 6
		.amdhsa_user_sgpr_private_segment_buffer 1
		.amdhsa_user_sgpr_dispatch_ptr 0
		.amdhsa_user_sgpr_queue_ptr 0
		.amdhsa_user_sgpr_kernarg_segment_ptr 1
		.amdhsa_user_sgpr_dispatch_id 0
		.amdhsa_user_sgpr_flat_scratch_init 0
		.amdhsa_user_sgpr_private_segment_size 0
		.amdhsa_uses_dynamic_stack 0
		.amdhsa_system_sgpr_private_segment_wavefront_offset 0
		.amdhsa_system_sgpr_workgroup_id_x 1
		.amdhsa_system_sgpr_workgroup_id_y 0
		.amdhsa_system_sgpr_workgroup_id_z 0
		.amdhsa_system_sgpr_workgroup_info 0
		.amdhsa_system_vgpr_workitem_id 0
		.amdhsa_next_free_vgpr 31
		.amdhsa_next_free_sgpr 61
		.amdhsa_reserve_vcc 1
		.amdhsa_reserve_flat_scratch 0
		.amdhsa_float_round_mode_32 0
		.amdhsa_float_round_mode_16_64 0
		.amdhsa_float_denorm_mode_32 3
		.amdhsa_float_denorm_mode_16_64 3
		.amdhsa_dx10_clamp 1
		.amdhsa_ieee_mode 1
		.amdhsa_fp16_overflow 0
		.amdhsa_exception_fp_ieee_invalid_op 0
		.amdhsa_exception_fp_denorm_src 0
		.amdhsa_exception_fp_ieee_div_zero 0
		.amdhsa_exception_fp_ieee_overflow 0
		.amdhsa_exception_fp_ieee_underflow 0
		.amdhsa_exception_fp_ieee_inexact 0
		.amdhsa_exception_int_div_zero 0
	.end_amdhsa_kernel
	.section	.text._Z15sort_key_kernelILj255ELj1ELb1ELb0EN10test_utils16custom_test_typeIhEEEvPT3_jj,"axG",@progbits,_Z15sort_key_kernelILj255ELj1ELb1ELb0EN10test_utils16custom_test_typeIhEEEvPT3_jj,comdat
.Lfunc_end0:
	.size	_Z15sort_key_kernelILj255ELj1ELb1ELb0EN10test_utils16custom_test_typeIhEEEvPT3_jj, .Lfunc_end0-_Z15sort_key_kernelILj255ELj1ELb1ELb0EN10test_utils16custom_test_typeIhEEEvPT3_jj
                                        ; -- End function
	.set _Z15sort_key_kernelILj255ELj1ELb1ELb0EN10test_utils16custom_test_typeIhEEEvPT3_jj.num_vgpr, 31
	.set _Z15sort_key_kernelILj255ELj1ELb1ELb0EN10test_utils16custom_test_typeIhEEEvPT3_jj.num_agpr, 0
	.set _Z15sort_key_kernelILj255ELj1ELb1ELb0EN10test_utils16custom_test_typeIhEEEvPT3_jj.numbered_sgpr, 51
	.set _Z15sort_key_kernelILj255ELj1ELb1ELb0EN10test_utils16custom_test_typeIhEEEvPT3_jj.num_named_barrier, 0
	.set _Z15sort_key_kernelILj255ELj1ELb1ELb0EN10test_utils16custom_test_typeIhEEEvPT3_jj.private_seg_size, 0
	.set _Z15sort_key_kernelILj255ELj1ELb1ELb0EN10test_utils16custom_test_typeIhEEEvPT3_jj.uses_vcc, 1
	.set _Z15sort_key_kernelILj255ELj1ELb1ELb0EN10test_utils16custom_test_typeIhEEEvPT3_jj.uses_flat_scratch, 0
	.set _Z15sort_key_kernelILj255ELj1ELb1ELb0EN10test_utils16custom_test_typeIhEEEvPT3_jj.has_dyn_sized_stack, 0
	.set _Z15sort_key_kernelILj255ELj1ELb1ELb0EN10test_utils16custom_test_typeIhEEEvPT3_jj.has_recursion, 0
	.set _Z15sort_key_kernelILj255ELj1ELb1ELb0EN10test_utils16custom_test_typeIhEEEvPT3_jj.has_indirect_call, 0
	.section	.AMDGPU.csdata,"",@progbits
; Kernel info:
; codeLenInByte = 4416
; TotalNumSgprs: 55
; NumVgprs: 31
; ScratchSize: 0
; MemoryBound: 0
; FloatMode: 240
; IeeeMode: 1
; LDSByteSize: 8176 bytes/workgroup (compile time only)
; SGPRBlocks: 8
; VGPRBlocks: 7
; NumSGPRsForWavesPerEU: 65
; NumVGPRsForWavesPerEU: 31
; Occupancy: 8
; WaveLimiterHint : 0
; COMPUTE_PGM_RSRC2:SCRATCH_EN: 0
; COMPUTE_PGM_RSRC2:USER_SGPR: 6
; COMPUTE_PGM_RSRC2:TRAP_HANDLER: 0
; COMPUTE_PGM_RSRC2:TGID_X_EN: 1
; COMPUTE_PGM_RSRC2:TGID_Y_EN: 0
; COMPUTE_PGM_RSRC2:TGID_Z_EN: 0
; COMPUTE_PGM_RSRC2:TIDIG_COMP_CNT: 0
	.section	.text._Z15sort_key_kernelILj129ELj2ELb0ELb1EN10test_utils16custom_test_typeIfEEEvPT3_jj,"axG",@progbits,_Z15sort_key_kernelILj129ELj2ELb0ELb1EN10test_utils16custom_test_typeIfEEEvPT3_jj,comdat
	.protected	_Z15sort_key_kernelILj129ELj2ELb0ELb1EN10test_utils16custom_test_typeIfEEEvPT3_jj ; -- Begin function _Z15sort_key_kernelILj129ELj2ELb0ELb1EN10test_utils16custom_test_typeIfEEEvPT3_jj
	.globl	_Z15sort_key_kernelILj129ELj2ELb0ELb1EN10test_utils16custom_test_typeIfEEEvPT3_jj
	.p2align	8
	.type	_Z15sort_key_kernelILj129ELj2ELb0ELb1EN10test_utils16custom_test_typeIfEEEvPT3_jj,@function
_Z15sort_key_kernelILj129ELj2ELb0ELb1EN10test_utils16custom_test_typeIfEEEvPT3_jj: ; @_Z15sort_key_kernelILj129ELj2ELb0ELb1EN10test_utils16custom_test_typeIfEEEvPT3_jj
; %bb.0:
	s_load_dwordx4 s[40:43], s[4:5], 0x0
	s_mul_i32 s0, s6, 0x102
	s_mov_b32 s1, 0
	s_lshl_b64 s[0:1], s[0:1], 3
	v_lshlrev_b32_e32 v5, 4, v0
	s_waitcnt lgkmcnt(0)
	s_add_u32 s24, s40, s0
	s_addc_u32 s25, s41, s1
	global_load_dwordx4 v[1:4], v5, s[24:25]
	v_mbcnt_lo_u32_b32 v7, -1, 0
	v_mbcnt_hi_u32_b32 v7, -1, v7
	v_subrev_co_u32_e64 v12, s[6:7], 1, v7
	v_and_b32_e32 v13, 64, v7
	v_lshrrev_b32_e32 v9, 4, v0
	v_cmp_lt_i32_e32 vcc, v12, v13
	v_and_b32_e32 v10, 15, v7
	v_and_b32_e32 v11, 16, v7
	v_cmp_lt_u32_e64 s[4:5], 31, v7
	v_and_b32_e32 v21, 12, v9
	v_and_b32_e32 v9, 3, v7
	v_cndmask_b32_e32 v7, v12, v7, vcc
	s_cmp_eq_u32 s42, 0
	v_lshlrev_b32_e32 v23, 2, v7
	v_mov_b32_e32 v7, s25
	v_add_co_u32_e32 v13, vcc, s24, v5
	s_cselect_b64 s[24:25], -1, 0
	s_cmp_eq_u32 s43, 64
	s_cselect_b64 s[28:29], -1, 0
	v_addc_co_u32_e32 v14, vcc, 0, v7, vcc
	s_and_b64 s[24:25], s[24:25], s[28:29]
	v_bfrev_b32_e32 v6, -2
	v_and_b32_e32 v8, 0xc0, v0
	s_and_b64 vcc, exec, s[24:25]
	v_min_u32_e32 v8, 0x41, v8
	v_add_u32_e32 v8, 63, v8
	s_movk_i32 s8, 0xffe4
	v_lshlrev_b32_e32 v19, 5, v0
	v_cmp_eq_u32_e64 s[22:23], v0, v8
	v_mad_i32_i24 v22, v0, s8, v19
	s_movk_i32 s33, 0x102
	v_mov_b32_e32 v24, 0
	s_mov_b64 s[26:27], -1
	v_cmp_gt_u32_e64 s[0:1], 3, v0
	v_cmp_lt_u32_e64 s[2:3], 63, v0
	v_cmp_eq_u32_e64 s[8:9], 0, v10
	v_cmp_lt_u32_e64 s[10:11], 1, v10
	v_cmp_lt_u32_e64 s[12:13], 3, v10
	;; [unrolled: 1-line block ×3, first 2 shown]
	v_cmp_eq_u32_e64 s[16:17], 0, v11
	v_cmp_eq_u32_e64 s[18:19], 0, v9
	v_cmp_lt_u32_e64 s[20:21], 1, v9
	v_mad_u32_u24 v20, v0, 12, v22
	s_waitcnt vmcnt(0)
	v_cmp_gt_i32_e64 s[24:25], 0, v1
	v_cndmask_b32_e64 v5, v6, 0, s[24:25]
	v_cmp_gt_i32_e64 s[24:25], 0, v2
	v_cndmask_b32_e64 v7, v6, 0, s[24:25]
	;; [unrolled: 2-line block ×4, first 2 shown]
	v_xor_b32_e32 v1, v5, v1
	v_xor_b32_e32 v2, v7, v2
	;; [unrolled: 1-line block ×4, first 2 shown]
	s_cbranch_vccnz .LBB1_20
; %bb.1:
	s_movk_i32 s24, 0x387
	s_movk_i32 s26, 0x306
	;; [unrolled: 1-line block ×5, first 2 shown]
	v_cmp_gt_u32_e64 s[36:37], s33, v0
	s_movk_i32 s33, 0x81
	v_lshlrev_b32_e32 v25, 2, v0
	v_cmp_gt_u32_e64 s[24:25], s24, v0
	v_cmp_gt_u32_e64 s[26:27], s26, v0
	;; [unrolled: 1-line block ×6, first 2 shown]
	s_sub_i32 s45, 0, s42
	s_sub_i32 s44, s43, s42
	v_mov_b32_e32 v26, 3
	v_mov_b32_e32 v8, v4
	;; [unrolled: 1-line block ×5, first 2 shown]
	s_branch .LBB1_3
.LBB1_2:                                ;   in Loop: Header=BB1_3 Depth=1
	s_andn2_b64 vcc, exec, s[40:41]
	s_mov_b32 s44, s47
	s_mov_b32 s45, s46
	s_cbranch_vccz .LBB1_19
.LBB1_3:                                ; =>This Inner Loop Header: Depth=1
	v_mov_b32_e32 v17, v5
	v_mov_b32_e32 v18, v6
	;; [unrolled: 1-line block ×4, first 2 shown]
	ds_write_b32 v25, v24
	s_and_saveexec_b64 s[40:41], s[24:25]
	s_cbranch_execz .LBB1_11
; %bb.4:                                ;   in Loop: Header=BB1_3 Depth=1
	ds_write_b32 v25, v24 offset:516
	s_and_b64 exec, exec, s[26:27]
	s_cbranch_execz .LBB1_11
; %bb.5:                                ;   in Loop: Header=BB1_3 Depth=1
	ds_write_b32 v25, v24 offset:1032
	s_and_b64 exec, exec, s[28:29]
	;; [unrolled: 4-line block ×6, first 2 shown]
; %bb.10:                               ;   in Loop: Header=BB1_3 Depth=1
	ds_write_b32 v25, v24 offset:3612
.LBB1_11:                               ;   in Loop: Header=BB1_3 Depth=1
	s_or_b64 exec, exec, s[40:41]
	s_max_i32 s48, s42, 0
	s_add_i32 s40, s48, s45
	s_max_i32 s49, s45, 0
	s_sub_i32 s50, s40, s49
	s_min_u32 s40, s44, 4
	s_add_i32 s41, s43, s45
	s_min_u32 s51, s41, 4
	s_add_i32 s52, s40, s42
	s_cmp_lt_i32 s42, 32
	s_cselect_b64 s[40:41], -1, 0
	s_cmp_gt_i32 s52, 0
	s_cselect_b64 s[46:47], -1, 0
	s_and_b64 vcc, s[40:41], s[46:47]
	s_cmp_lt_i32 s42, 64
	s_cselect_b64 s[40:41], -1, 0
	s_cmp_gt_i32 s52, 32
	s_cselect_b64 s[46:47], -1, 0
	s_add_i32 s50, s50, s52
	s_and_b64 s[40:41], s[40:41], s[46:47]
	s_min_i32 s46, s50, 32
	s_sub_i32 s46, s46, s48
	s_lshl_b32 s47, -1, s46
	s_not_b32 s47, s47
	s_cmp_lg_u32 s46, 32
	s_cselect_b32 s46, s47, -1
	s_max_i32 s50, s42, 32
	s_add_i32 s47, s45, 32
	s_sub_i32 s50, s50, 32
	s_max_i32 s47, s47, 0
	s_add_i32 s51, s50, s51
	s_sub_i32 s51, s51, s47
	s_min_i32 s51, s51, 32
	s_sub_i32 s51, s51, s50
	s_lshl_b32 s52, -1, s51
	s_not_b32 s52, s52
	s_cmp_lg_u32 s51, 32
	s_cselect_b32 s51, s52, -1
	v_lshrrev_b32_e32 v5, s48, v18
	v_lshrrev_b32_e32 v6, s50, v17
	v_and_b32_e32 v5, s46, v5
	v_and_b32_e32 v6, s51, v6
	v_lshlrev_b32_e32 v5, s49, v5
	v_lshlrev_b32_e32 v6, s47, v6
	v_cndmask_b32_e32 v5, 0, v5, vcc
	v_cndmask_b32_e64 v6, 0, v6, s[40:41]
	v_or_b32_e32 v5, v5, v6
	v_and_b32_e32 v6, 7, v5
	v_lshrrev_b32_e32 v5, 2, v5
	v_mad_u32_u24 v6, v6, s33, v0
	v_and_b32_e32 v5, 0x3ffffffe, v5
	v_lshl_add_u32 v28, v6, 2, v5
	ds_read_u16 v27, v28
	v_lshrrev_b32_e32 v6, s50, v15
	v_and_b32_e32 v6, s51, v6
	v_lshlrev_b32_e32 v6, s47, v6
	v_cndmask_b32_e64 v6, 0, v6, s[40:41]
	s_waitcnt lgkmcnt(0)
	v_add_u16_e32 v5, 1, v27
	ds_write_b16 v28, v5
	v_lshrrev_b32_e32 v5, s48, v16
	v_and_b32_e32 v5, s46, v5
	v_lshlrev_b32_e32 v5, s49, v5
	v_cndmask_b32_e32 v5, 0, v5, vcc
	v_or_b32_e32 v5, v5, v6
	v_and_b32_e32 v6, 7, v5
	v_lshrrev_b32_e32 v5, 2, v5
	v_mad_u32_u24 v6, v6, s33, v0
	v_and_b32_e32 v5, 0x3ffffffe, v5
	v_lshl_add_u32 v30, v6, 2, v5
	ds_read_u16 v29, v30
	s_waitcnt lgkmcnt(0)
	v_add_u16_e32 v5, 1, v29
	ds_write_b16 v30, v5
	s_waitcnt lgkmcnt(0)
	s_barrier
	ds_read2_b64 v[9:12], v19 offset1:1
	ds_read2_b64 v[5:8], v19 offset0:2 offset1:3
	s_waitcnt lgkmcnt(1)
	v_add_u32_e32 v31, v10, v9
	v_add3_u32 v31, v31, v11, v12
	s_waitcnt lgkmcnt(0)
	v_add3_u32 v31, v31, v5, v6
	v_add3_u32 v8, v31, v7, v8
	s_nop 1
	v_mov_b32_dpp v31, v8 row_shr:1 row_mask:0xf bank_mask:0xf
	v_cndmask_b32_e64 v31, v31, 0, s[8:9]
	v_add_u32_e32 v8, v31, v8
	s_nop 1
	v_mov_b32_dpp v31, v8 row_shr:2 row_mask:0xf bank_mask:0xf
	v_cndmask_b32_e64 v31, 0, v31, s[10:11]
	v_add_u32_e32 v8, v8, v31
	;; [unrolled: 4-line block ×4, first 2 shown]
	s_nop 1
	v_mov_b32_dpp v31, v8 row_bcast:15 row_mask:0xf bank_mask:0xf
	v_cndmask_b32_e64 v31, v31, 0, s[16:17]
	v_add_u32_e32 v8, v8, v31
	s_nop 1
	v_mov_b32_dpp v31, v8 row_bcast:31 row_mask:0xf bank_mask:0xf
	v_cndmask_b32_e64 v31, 0, v31, s[4:5]
	v_add_u32_e32 v8, v8, v31
	s_and_saveexec_b64 s[40:41], s[22:23]
; %bb.12:                               ;   in Loop: Header=BB1_3 Depth=1
	ds_write_b32 v21, v8 offset:4128
; %bb.13:                               ;   in Loop: Header=BB1_3 Depth=1
	s_or_b64 exec, exec, s[40:41]
	s_waitcnt lgkmcnt(0)
	s_barrier
	s_and_saveexec_b64 s[40:41], s[0:1]
	s_cbranch_execz .LBB1_15
; %bb.14:                               ;   in Loop: Header=BB1_3 Depth=1
	ds_read_b32 v31, v22 offset:4128
	s_waitcnt lgkmcnt(0)
	s_nop 0
	v_mov_b32_dpp v32, v31 row_shr:1 row_mask:0xf bank_mask:0xf
	v_cndmask_b32_e64 v32, v32, 0, s[18:19]
	v_add_u32_e32 v31, v32, v31
	s_nop 1
	v_mov_b32_dpp v32, v31 row_shr:2 row_mask:0xf bank_mask:0xf
	v_cndmask_b32_e64 v32, 0, v32, s[20:21]
	v_add_u32_e32 v31, v31, v32
	ds_write_b32 v22, v31 offset:4128
.LBB1_15:                               ;   in Loop: Header=BB1_3 Depth=1
	s_or_b64 exec, exec, s[40:41]
	v_mov_b32_e32 v31, 0
	s_waitcnt lgkmcnt(0)
	s_barrier
	s_and_saveexec_b64 s[40:41], s[2:3]
; %bb.16:                               ;   in Loop: Header=BB1_3 Depth=1
	ds_read_b32 v31, v21 offset:4124
; %bb.17:                               ;   in Loop: Header=BB1_3 Depth=1
	s_or_b64 exec, exec, s[40:41]
	s_waitcnt lgkmcnt(0)
	v_add_u32_e32 v8, v31, v8
	ds_bpermute_b32 v8, v23, v8
	ds_read_b32 v32, v24 offset:4136
	s_add_i32 s42, s42, 4
	s_cmp_ge_u32 s42, s43
	s_mov_b64 s[40:41], -1
	s_waitcnt lgkmcnt(1)
	v_cndmask_b32_e64 v8, v8, v31, s[6:7]
	s_waitcnt lgkmcnt(0)
	v_lshl_add_u32 v8, v32, 16, v8
	v_add_u32_e32 v9, v8, v9
	v_add_u32_e32 v10, v9, v10
	;; [unrolled: 1-line block ×7, first 2 shown]
	ds_write2_b64 v19, v[8:9], v[10:11] offset1:1
	ds_write2_b64 v19, v[31:32], v[5:6] offset0:2 offset1:3
	s_waitcnt lgkmcnt(0)
	s_barrier
	ds_read_u16 v5, v28
	ds_read_u16 v6, v30
	v_lshlrev_b32_sdwa v7, v26, v27 dst_sel:DWORD dst_unused:UNUSED_PAD src0_sel:DWORD src1_sel:WORD_0
	v_readfirstlane_b32 s46, v0
	v_readfirstlane_b32 s47, v0
	s_waitcnt lgkmcnt(1)
	v_lshl_add_u32 v10, v5, 3, v7
	v_lshlrev_b32_sdwa v5, v26, v29 dst_sel:DWORD dst_unused:UNUSED_PAD src0_sel:DWORD src1_sel:WORD_0
	s_waitcnt lgkmcnt(0)
	v_lshl_add_u32 v9, v6, 3, v5
                                        ; implicit-def: $vgpr5
	s_cbranch_scc1 .LBB1_2
; %bb.18:                               ;   in Loop: Header=BB1_3 Depth=1
	s_barrier
	ds_write_b64 v10, v[17:18]
	ds_write_b64 v9, v[15:16]
	s_waitcnt lgkmcnt(0)
	s_barrier
	ds_read2_b64 v[5:8], v20 offset1:1
	s_add_i32 s46, s45, -4
	s_add_i32 s47, s44, -4
	s_mov_b64 s[40:41], 0
	s_waitcnt lgkmcnt(0)
	s_barrier
	s_branch .LBB1_2
.LBB1_19:
	s_mov_b64 s[26:27], 0
	s_barrier
	ds_write_b64 v10, v[17:18]
	ds_write_b64 v9, v[15:16]
	s_waitcnt lgkmcnt(0)
	s_barrier
.LBB1_20:
	s_and_b64 vcc, exec, s[26:27]
	s_cbranch_vccz .LBB1_40
; %bb.21:
	s_movk_i32 s33, 0x183
	v_cmp_gt_u32_e64 s[34:35], s33, v0
	s_movk_i32 s33, 0x102
	v_mul_i32_i24_e32 v5, -12, v0
	s_movk_i32 s24, 0x387
	s_movk_i32 s26, 0x306
	;; [unrolled: 1-line block ×4, first 2 shown]
	v_cmp_gt_u32_e64 s[36:37], s33, v0
	s_movk_i32 s33, 0x81
	v_cmp_gt_u32_e64 s[24:25], s24, v0
	v_cmp_gt_u32_e64 s[26:27], s26, v0
	v_cmp_gt_u32_e64 s[28:29], s28, v0
	v_cmp_gt_u32_e64 s[30:31], s30, v0
	v_cmp_gt_u32_e64 s[38:39], s33, v0
	s_mov_b32 s42, 0
	s_mov_b32 s43, 32
	s_mov_b32 s44, 4
	v_add_u32_e32 v15, v20, v5
	v_mov_b32_e32 v16, 0
	v_mov_b32_e32 v17, 3
	s_branch .LBB1_23
.LBB1_22:                               ;   in Loop: Header=BB1_23 Depth=1
	s_barrier
	ds_write_b64 v6, v[11:12]
	ds_write_b64 v5, v[9:10]
	s_waitcnt lgkmcnt(0)
	s_barrier
	ds_read2_b64 v[1:4], v20 offset1:1
	s_add_i32 s43, s43, -4
	s_add_i32 s44, s44, 4
	s_add_i32 s42, s42, 4
	s_waitcnt lgkmcnt(0)
	s_barrier
	s_cbranch_execz .LBB1_39
.LBB1_23:                               ; =>This Inner Loop Header: Depth=1
	v_mov_b32_e32 v11, v1
	v_mov_b32_e32 v12, v2
	;; [unrolled: 1-line block ×4, first 2 shown]
	ds_write_b32 v15, v16
	s_and_saveexec_b64 s[40:41], s[24:25]
	s_cbranch_execz .LBB1_31
; %bb.24:                               ;   in Loop: Header=BB1_23 Depth=1
	ds_write_b32 v15, v16 offset:516
	s_and_b64 exec, exec, s[26:27]
	s_cbranch_execz .LBB1_31
; %bb.25:                               ;   in Loop: Header=BB1_23 Depth=1
	ds_write_b32 v15, v16 offset:1032
	s_and_b64 exec, exec, s[28:29]
	;; [unrolled: 4-line block ×6, first 2 shown]
; %bb.30:                               ;   in Loop: Header=BB1_23 Depth=1
	ds_write_b32 v15, v16 offset:3612
.LBB1_31:                               ;   in Loop: Header=BB1_23 Depth=1
	s_or_b64 exec, exec, s[40:41]
	s_min_i32 s45, s44, 32
	s_cmp_lt_u32 s42, 32
	s_cselect_b64 vcc, -1, 0
	s_cmp_gt_u32 s42, 31
	s_cselect_b64 s[40:41], -1, 0
	s_sub_i32 s45, s45, 32
	s_add_i32 s46, s45, s43
	s_lshl_b32 s46, -1, s46
	s_not_b32 s46, s46
	s_cmp_lg_u32 s45, s42
	s_cselect_b32 s45, s46, -1
	s_max_i32 s46, s43, 0
	s_max_i32 s47, s42, 32
	s_sub_i32 s48, s47, 32
	s_sub_i32 s47, s47, s46
	;; [unrolled: 1-line block ×3, first 2 shown]
	s_min_i32 s47, s47, 32
	s_sub_i32 s47, s47, s48
	s_lshl_b32 s49, -1, s47
	s_not_b32 s49, s49
	s_cmp_lg_u32 s47, 32
	s_cselect_b32 s47, s49, -1
	v_lshrrev_b32_e32 v2, s48, v11
	v_lshrrev_b32_e32 v1, s42, v12
	v_and_b32_e32 v2, s47, v2
	v_and_b32_e32 v1, s45, v1
	v_lshlrev_b32_e32 v2, s46, v2
	v_cndmask_b32_e32 v1, 0, v1, vcc
	v_cndmask_b32_e64 v2, 0, v2, s[40:41]
	v_or_b32_e32 v1, v1, v2
	v_and_b32_e32 v2, 7, v1
	v_lshrrev_b32_e32 v1, 2, v1
	v_mad_u32_u24 v2, v2, s33, v0
	v_and_b32_e32 v1, 0x3ffffffe, v1
	v_lshl_add_u32 v24, v2, 2, v1
	ds_read_u16 v18, v24
	v_lshrrev_b32_e32 v2, s48, v9
	v_and_b32_e32 v2, s47, v2
	v_lshlrev_b32_e32 v2, s46, v2
	v_cndmask_b32_e64 v2, 0, v2, s[40:41]
	s_waitcnt lgkmcnt(0)
	v_add_u16_e32 v1, 1, v18
	ds_write_b16 v24, v1
	v_lshrrev_b32_e32 v1, s42, v10
	v_and_b32_e32 v1, s45, v1
	v_cndmask_b32_e32 v1, 0, v1, vcc
	v_or_b32_e32 v1, v1, v2
	v_and_b32_e32 v2, 7, v1
	v_lshrrev_b32_e32 v1, 2, v1
	v_mad_u32_u24 v2, v2, s33, v0
	v_and_b32_e32 v1, 0x3ffffffe, v1
	v_lshl_add_u32 v26, v2, 2, v1
	ds_read_u16 v25, v26
	s_waitcnt lgkmcnt(0)
	v_add_u16_e32 v1, 1, v25
	ds_write_b16 v26, v1
	s_waitcnt lgkmcnt(0)
	s_barrier
	ds_read2_b64 v[5:8], v19 offset1:1
	ds_read2_b64 v[1:4], v19 offset0:2 offset1:3
	s_waitcnt lgkmcnt(1)
	v_add_u32_e32 v27, v6, v5
	v_add3_u32 v27, v27, v7, v8
	s_waitcnt lgkmcnt(0)
	v_add3_u32 v27, v27, v1, v2
	v_add3_u32 v4, v27, v3, v4
	s_nop 1
	v_mov_b32_dpp v27, v4 row_shr:1 row_mask:0xf bank_mask:0xf
	v_cndmask_b32_e64 v27, v27, 0, s[8:9]
	v_add_u32_e32 v4, v27, v4
	s_nop 1
	v_mov_b32_dpp v27, v4 row_shr:2 row_mask:0xf bank_mask:0xf
	v_cndmask_b32_e64 v27, 0, v27, s[10:11]
	v_add_u32_e32 v4, v4, v27
	;; [unrolled: 4-line block ×4, first 2 shown]
	s_nop 1
	v_mov_b32_dpp v27, v4 row_bcast:15 row_mask:0xf bank_mask:0xf
	v_cndmask_b32_e64 v27, v27, 0, s[16:17]
	v_add_u32_e32 v4, v4, v27
	s_nop 1
	v_mov_b32_dpp v27, v4 row_bcast:31 row_mask:0xf bank_mask:0xf
	v_cndmask_b32_e64 v27, 0, v27, s[4:5]
	v_add_u32_e32 v4, v4, v27
	s_and_saveexec_b64 s[40:41], s[22:23]
; %bb.32:                               ;   in Loop: Header=BB1_23 Depth=1
	ds_write_b32 v21, v4 offset:4128
; %bb.33:                               ;   in Loop: Header=BB1_23 Depth=1
	s_or_b64 exec, exec, s[40:41]
	s_waitcnt lgkmcnt(0)
	s_barrier
	s_and_saveexec_b64 s[40:41], s[0:1]
	s_cbranch_execz .LBB1_35
; %bb.34:                               ;   in Loop: Header=BB1_23 Depth=1
	ds_read_b32 v27, v22 offset:4128
	s_waitcnt lgkmcnt(0)
	s_nop 0
	v_mov_b32_dpp v28, v27 row_shr:1 row_mask:0xf bank_mask:0xf
	v_cndmask_b32_e64 v28, v28, 0, s[18:19]
	v_add_u32_e32 v27, v28, v27
	s_nop 1
	v_mov_b32_dpp v28, v27 row_shr:2 row_mask:0xf bank_mask:0xf
	v_cndmask_b32_e64 v28, 0, v28, s[20:21]
	v_add_u32_e32 v27, v27, v28
	ds_write_b32 v22, v27 offset:4128
.LBB1_35:                               ;   in Loop: Header=BB1_23 Depth=1
	s_or_b64 exec, exec, s[40:41]
	v_mov_b32_e32 v27, 0
	s_waitcnt lgkmcnt(0)
	s_barrier
	s_and_saveexec_b64 s[40:41], s[2:3]
; %bb.36:                               ;   in Loop: Header=BB1_23 Depth=1
	ds_read_b32 v27, v21 offset:4124
; %bb.37:                               ;   in Loop: Header=BB1_23 Depth=1
	s_or_b64 exec, exec, s[40:41]
	s_waitcnt lgkmcnt(0)
	v_add_u32_e32 v4, v27, v4
	ds_bpermute_b32 v4, v23, v4
	ds_read_b32 v28, v16 offset:4136
	s_cmp_gt_u32 s42, 59
	s_waitcnt lgkmcnt(1)
	v_cndmask_b32_e64 v4, v4, v27, s[6:7]
	s_waitcnt lgkmcnt(0)
	v_lshl_add_u32 v4, v28, 16, v4
	v_add_u32_e32 v5, v4, v5
	v_add_u32_e32 v6, v5, v6
	;; [unrolled: 1-line block ×7, first 2 shown]
	ds_write2_b64 v19, v[4:5], v[6:7] offset1:1
	ds_write2_b64 v19, v[27:28], v[1:2] offset0:2 offset1:3
	s_waitcnt lgkmcnt(0)
	s_barrier
	ds_read_u16 v1, v24
	ds_read_u16 v2, v26
	v_lshlrev_b32_sdwa v3, v17, v18 dst_sel:DWORD dst_unused:UNUSED_PAD src0_sel:DWORD src1_sel:WORD_0
	s_waitcnt lgkmcnt(0)
	v_lshl_add_u32 v6, v1, 3, v3
	v_lshlrev_b32_sdwa v1, v17, v25 dst_sel:DWORD dst_unused:UNUSED_PAD src0_sel:DWORD src1_sel:WORD_0
	v_lshl_add_u32 v5, v2, 3, v1
	s_cbranch_scc0 .LBB1_22
; %bb.38:
                                        ; implicit-def: $sgpr42
                                        ; implicit-def: $vgpr1
                                        ; implicit-def: $sgpr43
                                        ; implicit-def: $sgpr44
.LBB1_39:
	s_barrier
	ds_write_b64 v6, v[11:12]
	ds_write_b64 v5, v[9:10]
	s_waitcnt lgkmcnt(0)
	s_barrier
.LBB1_40:
	ds_read2_b64 v[0:3], v20 offset1:1
	v_bfrev_b32_e32 v4, -2
	s_waitcnt lgkmcnt(0)
	v_cmp_gt_i32_e32 vcc, 0, v0
	v_cndmask_b32_e64 v5, v4, 0, vcc
	v_cmp_gt_i32_e32 vcc, 0, v1
	v_xor_b32_e32 v0, v5, v0
	v_cndmask_b32_e64 v5, v4, 0, vcc
	v_cmp_gt_i32_e32 vcc, 0, v2
	v_xor_b32_e32 v1, v5, v1
	v_cndmask_b32_e64 v5, v4, 0, vcc
	v_cmp_gt_i32_e32 vcc, 0, v3
	v_cndmask_b32_e64 v4, v4, 0, vcc
	v_xor_b32_e32 v2, v5, v2
	v_xor_b32_e32 v3, v4, v3
	global_store_dwordx4 v[13:14], v[0:3], off
	s_endpgm
	.section	.rodata,"a",@progbits
	.p2align	6, 0x0
	.amdhsa_kernel _Z15sort_key_kernelILj129ELj2ELb0ELb1EN10test_utils16custom_test_typeIfEEEvPT3_jj
		.amdhsa_group_segment_fixed_size 4144
		.amdhsa_private_segment_fixed_size 0
		.amdhsa_kernarg_size 16
		.amdhsa_user_sgpr_count 6
		.amdhsa_user_sgpr_private_segment_buffer 1
		.amdhsa_user_sgpr_dispatch_ptr 0
		.amdhsa_user_sgpr_queue_ptr 0
		.amdhsa_user_sgpr_kernarg_segment_ptr 1
		.amdhsa_user_sgpr_dispatch_id 0
		.amdhsa_user_sgpr_flat_scratch_init 0
		.amdhsa_user_sgpr_private_segment_size 0
		.amdhsa_uses_dynamic_stack 0
		.amdhsa_system_sgpr_private_segment_wavefront_offset 0
		.amdhsa_system_sgpr_workgroup_id_x 1
		.amdhsa_system_sgpr_workgroup_id_y 0
		.amdhsa_system_sgpr_workgroup_id_z 0
		.amdhsa_system_sgpr_workgroup_info 0
		.amdhsa_system_vgpr_workitem_id 0
		.amdhsa_next_free_vgpr 33
		.amdhsa_next_free_sgpr 53
		.amdhsa_reserve_vcc 1
		.amdhsa_reserve_flat_scratch 0
		.amdhsa_float_round_mode_32 0
		.amdhsa_float_round_mode_16_64 0
		.amdhsa_float_denorm_mode_32 3
		.amdhsa_float_denorm_mode_16_64 3
		.amdhsa_dx10_clamp 1
		.amdhsa_ieee_mode 1
		.amdhsa_fp16_overflow 0
		.amdhsa_exception_fp_ieee_invalid_op 0
		.amdhsa_exception_fp_denorm_src 0
		.amdhsa_exception_fp_ieee_div_zero 0
		.amdhsa_exception_fp_ieee_overflow 0
		.amdhsa_exception_fp_ieee_underflow 0
		.amdhsa_exception_fp_ieee_inexact 0
		.amdhsa_exception_int_div_zero 0
	.end_amdhsa_kernel
	.section	.text._Z15sort_key_kernelILj129ELj2ELb0ELb1EN10test_utils16custom_test_typeIfEEEvPT3_jj,"axG",@progbits,_Z15sort_key_kernelILj129ELj2ELb0ELb1EN10test_utils16custom_test_typeIfEEEvPT3_jj,comdat
.Lfunc_end1:
	.size	_Z15sort_key_kernelILj129ELj2ELb0ELb1EN10test_utils16custom_test_typeIfEEEvPT3_jj, .Lfunc_end1-_Z15sort_key_kernelILj129ELj2ELb0ELb1EN10test_utils16custom_test_typeIfEEEvPT3_jj
                                        ; -- End function
	.set _Z15sort_key_kernelILj129ELj2ELb0ELb1EN10test_utils16custom_test_typeIfEEEvPT3_jj.num_vgpr, 33
	.set _Z15sort_key_kernelILj129ELj2ELb0ELb1EN10test_utils16custom_test_typeIfEEEvPT3_jj.num_agpr, 0
	.set _Z15sort_key_kernelILj129ELj2ELb0ELb1EN10test_utils16custom_test_typeIfEEEvPT3_jj.numbered_sgpr, 53
	.set _Z15sort_key_kernelILj129ELj2ELb0ELb1EN10test_utils16custom_test_typeIfEEEvPT3_jj.num_named_barrier, 0
	.set _Z15sort_key_kernelILj129ELj2ELb0ELb1EN10test_utils16custom_test_typeIfEEEvPT3_jj.private_seg_size, 0
	.set _Z15sort_key_kernelILj129ELj2ELb0ELb1EN10test_utils16custom_test_typeIfEEEvPT3_jj.uses_vcc, 1
	.set _Z15sort_key_kernelILj129ELj2ELb0ELb1EN10test_utils16custom_test_typeIfEEEvPT3_jj.uses_flat_scratch, 0
	.set _Z15sort_key_kernelILj129ELj2ELb0ELb1EN10test_utils16custom_test_typeIfEEEvPT3_jj.has_dyn_sized_stack, 0
	.set _Z15sort_key_kernelILj129ELj2ELb0ELb1EN10test_utils16custom_test_typeIfEEEvPT3_jj.has_recursion, 0
	.set _Z15sort_key_kernelILj129ELj2ELb0ELb1EN10test_utils16custom_test_typeIfEEEvPT3_jj.has_indirect_call, 0
	.section	.AMDGPU.csdata,"",@progbits
; Kernel info:
; codeLenInByte = 2804
; TotalNumSgprs: 57
; NumVgprs: 33
; ScratchSize: 0
; MemoryBound: 0
; FloatMode: 240
; IeeeMode: 1
; LDSByteSize: 4144 bytes/workgroup (compile time only)
; SGPRBlocks: 7
; VGPRBlocks: 8
; NumSGPRsForWavesPerEU: 57
; NumVGPRsForWavesPerEU: 33
; Occupancy: 7
; WaveLimiterHint : 0
; COMPUTE_PGM_RSRC2:SCRATCH_EN: 0
; COMPUTE_PGM_RSRC2:USER_SGPR: 6
; COMPUTE_PGM_RSRC2:TRAP_HANDLER: 0
; COMPUTE_PGM_RSRC2:TGID_X_EN: 1
; COMPUTE_PGM_RSRC2:TGID_Y_EN: 0
; COMPUTE_PGM_RSRC2:TGID_Z_EN: 0
; COMPUTE_PGM_RSRC2:TIDIG_COMP_CNT: 0
	.section	.text._Z15sort_key_kernelILj128ELj4ELb0ELb0EN10test_utils16custom_test_typeIsEEEvPT3_jj,"axG",@progbits,_Z15sort_key_kernelILj128ELj4ELb0ELb0EN10test_utils16custom_test_typeIsEEEvPT3_jj,comdat
	.protected	_Z15sort_key_kernelILj128ELj4ELb0ELb0EN10test_utils16custom_test_typeIsEEEvPT3_jj ; -- Begin function _Z15sort_key_kernelILj128ELj4ELb0ELb0EN10test_utils16custom_test_typeIsEEEvPT3_jj
	.globl	_Z15sort_key_kernelILj128ELj4ELb0ELb0EN10test_utils16custom_test_typeIsEEEvPT3_jj
	.p2align	8
	.type	_Z15sort_key_kernelILj128ELj4ELb0ELb0EN10test_utils16custom_test_typeIsEEEvPT3_jj,@function
_Z15sort_key_kernelILj128ELj4ELb0ELb0EN10test_utils16custom_test_typeIsEEEvPT3_jj: ; @_Z15sort_key_kernelILj128ELj4ELb0ELb0EN10test_utils16custom_test_typeIsEEEvPT3_jj
; %bb.0:
	s_load_dwordx4 s[40:43], s[4:5], 0x0
	s_mov_b32 s44, 0
	s_lshl_b32 s0, s6, 9
	s_mov_b32 s1, s44
	s_lshl_b64 s[0:1], s[0:1], 2
	s_waitcnt lgkmcnt(0)
	s_add_u32 s20, s40, s0
	s_addc_u32 s21, s41, s1
	v_lshlrev_b32_e32 v7, 4, v0
	global_load_dwordx4 v[3:6], v7, s[20:21]
	v_mbcnt_lo_u32_b32 v8, -1, 0
	v_mbcnt_hi_u32_b32 v18, -1, v8
	v_lshrrev_b32_e32 v8, 2, v18
	v_and_b32_e32 v17, 64, v18
	s_cmp_lg_u32 s42, 0
	v_or_b32_e32 v21, v8, v17
	v_add_u32_e32 v20, 48, v8
	v_mov_b32_e32 v8, s21
	v_add_co_u32_e32 v7, vcc, s20, v7
	s_cselect_b64 s[20:21], -1, 0
	s_cmp_lg_u32 s43, 32
	s_movk_i32 s24, 0x8000
	v_and_b32_e32 v10, 3, v18
	s_cselect_b64 s[22:23], -1, 0
	v_lshlrev_b32_e32 v12, 2, v0
	v_cmp_eq_u32_e64 s[0:1], 0, v10
	v_cmp_eq_u32_e64 s[2:3], 1, v10
	;; [unrolled: 1-line block ×4, first 2 shown]
	v_lshlrev_b32_e32 v27, 2, v21
	v_addc_co_u32_e32 v8, vcc, 0, v8, vcc
	s_or_b64 s[20:21], s[20:21], s[22:23]
	v_mov_b32_e32 v9, 0
	s_mov_b64 s[18:19], -1
	v_cmp_gt_u32_e64 s[10:11], 2, v0
	v_cmp_lt_u32_e64 s[12:13], 63, v0
	v_cmp_eq_u32_e64 s[14:15], 0, v0
	v_lshrrev_b32_e32 v14, 4, v0
	v_mul_i32_i24_e32 v11, -12, v0
	v_lshlrev_b32_e32 v13, 2, v12
	v_and_b32_e32 v16, 15, v18
	v_and_b32_e32 v19, 16, v18
	v_cmp_lt_u32_e64 s[16:17], 31, v18
	v_and_b32_e32 v15, 1, v18
	v_add_u32_e32 v21, 64, v27
	v_or_b32_e32 v22, 0x80, v27
	s_and_b64 vcc, exec, s[20:21]
	s_waitcnt vmcnt(0)
	v_xor_b32_e32 v10, 0xffff8000, v3
	v_xor_b32_sdwa v3, v3, s24 dst_sel:WORD_1 dst_unused:UNUSED_PAD src0_sel:WORD_1 src1_sel:DWORD
	v_xor_b32_e32 v24, 0xffff8000, v4
	v_xor_b32_sdwa v4, v4, s24 dst_sel:WORD_1 dst_unused:UNUSED_PAD src0_sel:WORD_1 src1_sel:DWORD
	;; [unrolled: 2-line block ×4, first 2 shown]
	v_or_b32_sdwa v23, v3, v10 dst_sel:DWORD dst_unused:UNUSED_PAD src0_sel:DWORD src1_sel:WORD_0
	v_or_b32_sdwa v24, v4, v24 dst_sel:DWORD dst_unused:UNUSED_PAD src0_sel:DWORD src1_sel:WORD_0
	;; [unrolled: 1-line block ×4, first 2 shown]
	s_cbranch_vccz .LBB2_20
; %bb.1:
	ds_bpermute_b32 v3, v27, v23
	ds_bpermute_b32 v4, v27, v24
	;; [unrolled: 1-line block ×5, first 2 shown]
	s_waitcnt lgkmcnt(4)
	v_cndmask_b32_e64 v3, 0, v3, s[0:1]
	s_waitcnt lgkmcnt(3)
	v_cndmask_b32_e64 v3, v3, v4, s[2:3]
	ds_bpermute_b32 v4, v21, v24
	ds_bpermute_b32 v28, v21, v25
	s_waitcnt lgkmcnt(4)
	v_cndmask_b32_e64 v3, v3, v5, s[8:9]
	s_waitcnt lgkmcnt(3)
	v_cndmask_b32_e64 v5, 0, v10, s[0:1]
	s_waitcnt lgkmcnt(2)
	v_cndmask_b32_e64 v3, v3, v6, s[6:7]
	s_waitcnt lgkmcnt(1)
	v_cndmask_b32_e64 v4, v5, v4, s[2:3]
	ds_bpermute_b32 v5, v21, v26
	ds_bpermute_b32 v6, v22, v23
	;; [unrolled: 1-line block ×3, first 2 shown]
	s_waitcnt lgkmcnt(3)
	v_cndmask_b32_e64 v4, v4, v28, s[8:9]
	ds_bpermute_b32 v28, v22, v25
	ds_bpermute_b32 v29, v22, v26
	s_waitcnt lgkmcnt(4)
	v_cndmask_b32_e64 v4, v4, v5, s[6:7]
	s_waitcnt lgkmcnt(3)
	v_cndmask_b32_e64 v5, 0, v6, s[0:1]
	v_and_or_b32 v6, v20, 63, v17
	v_lshlrev_b32_e32 v6, 2, v6
	s_waitcnt lgkmcnt(2)
	v_cndmask_b32_e64 v5, v5, v10, s[2:3]
	ds_bpermute_b32 v10, v6, v23
	s_waitcnt lgkmcnt(2)
	v_cndmask_b32_e64 v5, v5, v28, s[8:9]
	ds_bpermute_b32 v28, v6, v24
	s_waitcnt lgkmcnt(2)
	v_cndmask_b32_e64 v5, v5, v29, s[6:7]
	ds_bpermute_b32 v29, v6, v25
	s_waitcnt lgkmcnt(0)
	s_barrier
	s_load_dword s18, s[4:5], 0x1c
	ds_bpermute_b32 v6, v6, v26
	v_cndmask_b32_e64 v10, 0, v10, s[0:1]
	v_cndmask_b32_e64 v10, v10, v28, s[2:3]
	v_cndmask_b32_e64 v10, v10, v29, s[8:9]
	s_waitcnt lgkmcnt(0)
	s_lshr_b32 s19, s18, 16
	v_or_b32_e32 v28, 63, v0
	v_cndmask_b32_e64 v6, v10, v6, s[6:7]
	s_and_b32 s18, s18, 0xffff
	v_mad_u32_u24 v10, v2, s19, v1
	v_cmp_eq_u32_e64 s[28:29], v0, v28
	v_subrev_co_u32_e64 v28, s[30:31], 1, v18
	v_mad_u32_u24 v10, v10, s18, v0
	v_cmp_lt_i32_e32 vcc, v28, v17
	s_movk_i32 s33, 0x100
	v_cndmask_b32_e32 v28, v28, v18, vcc
	v_and_b32_e32 v29, 4, v14
	v_and_or_b32 v31, v12, s33, v18
	v_lshrrev_b32_e32 v10, 4, v10
	v_cmp_eq_u32_e64 s[18:19], 0, v16
	v_cmp_lt_u32_e64 s[20:21], 1, v16
	v_cmp_lt_u32_e64 s[22:23], 3, v16
	;; [unrolled: 1-line block ×3, first 2 shown]
	v_cmp_eq_u32_e64 s[26:27], 0, v19
	v_lshlrev_b32_e32 v28, 2, v28
	v_cmp_eq_u32_e64 s[34:35], 0, v15
	v_add_u32_e32 v30, -4, v29
	v_lshlrev_b32_e32 v31, 2, v31
	v_and_b32_e32 v32, 0xffffffc, v10
	s_sub_i32 s48, 0, s42
	s_sub_i32 s33, s43, s42
	s_mov_b32 s45, s44
	s_mov_b32 s46, s44
	s_mov_b32 s47, s44
	v_add_u32_e32 v33, v13, v11
	s_branch .LBB2_3
.LBB2_2:                                ;   in Loop: Header=BB2_3 Depth=1
	s_andn2_b64 vcc, exec, s[36:37]
	s_mov_b32 s33, s39
	s_mov_b32 s48, s38
	s_cbranch_vccz .LBB2_19
.LBB2_3:                                ; =>This Inner Loop Header: Depth=1
	s_max_i32 s49, s42, 0
	s_add_i32 s36, s49, s48
	s_max_i32 s50, s48, 0
	s_sub_i32 s40, s36, s50
	s_min_u32 s36, s33, 8
	s_add_i32 s37, s43, s48
	s_min_u32 s41, s37, 8
	s_add_i32 s51, s36, s42
	s_cmp_lt_i32 s42, 16
	s_cselect_b64 s[36:37], -1, 0
	s_cmp_gt_i32 s51, 0
	s_cselect_b64 s[38:39], -1, 0
	s_and_b64 vcc, s[36:37], s[38:39]
	s_cmp_lt_i32 s42, 32
	s_cselect_b64 s[36:37], -1, 0
	s_cmp_gt_i32 s51, 16
	s_cselect_b64 s[38:39], -1, 0
	s_add_i32 s40, s40, s51
	s_min_i32 s40, s40, 16
	s_sub_i32 s40, s40, s49
	s_lshl_b32 s40, -1, s40
	s_max_i32 s53, s42, 16
	s_not_b32 s52, s40
	s_add_i32 s40, s48, 16
	s_add_i32 s53, s53, -16
	s_max_i32 s51, s40, 0
	s_add_i32 s40, s53, s41
	s_sub_i32 s40, s40, s51
	s_min_i32 s40, s40, 16
	v_mov_b32_e32 v37, v3
	v_mov_b32_e32 v36, v4
	;; [unrolled: 1-line block ×6, first 2 shown]
	s_sub_i32 s40, s40, s53
	v_mov_b32_e32 v4, s45
	v_mov_b32_e32 v6, s47
	s_lshl_b32 s40, -1, s40
	ds_write2_b64 v13, v[3:4], v[5:6] offset0:1 offset1:2
	s_not_b32 s54, s40
	v_lshrrev_b32_sdwa v3, s49, v37 dst_sel:DWORD dst_unused:UNUSED_PAD src0_sel:DWORD src1_sel:WORD_1
	v_lshrrev_b32_sdwa v4, s53, v37 dst_sel:DWORD dst_unused:UNUSED_PAD src0_sel:DWORD src1_sel:WORD_0
	v_and_b32_e32 v3, s52, v3
	v_and_b32_e32 v4, s54, v4
	v_lshlrev_b32_e32 v3, s50, v3
	v_lshlrev_b32_e32 v4, s51, v4
	s_and_b64 s[36:37], s[36:37], s[38:39]
	v_cndmask_b32_e32 v3, 0, v3, vcc
	v_cndmask_b32_e64 v4, 0, v4, s[36:37]
	v_or_b32_e32 v3, v3, v4
	v_and_b32_e32 v4, 1, v3
	v_add_co_u32_e64 v6, s[38:39], -1, v4
	v_addc_co_u32_e64 v10, s[38:39], 0, -1, s[38:39]
	v_cmp_ne_u32_e64 s[38:39], 0, v4
	v_xor_b32_e32 v4, s39, v10
	v_lshlrev_b32_e32 v10, 30, v3
	v_xor_b32_e32 v6, s38, v6
	v_cmp_gt_i64_e64 s[38:39], 0, v[9:10]
	v_not_b32_e32 v10, v10
	v_ashrrev_i32_e32 v10, 31, v10
	v_and_b32_e32 v6, exec_lo, v6
	v_xor_b32_e32 v38, s39, v10
	v_xor_b32_e32 v10, s38, v10
	v_and_b32_e32 v6, v6, v10
	v_lshlrev_b32_e32 v10, 29, v3
	v_cmp_gt_i64_e64 s[38:39], 0, v[9:10]
	v_not_b32_e32 v10, v10
	v_and_b32_e32 v4, exec_hi, v4
	v_ashrrev_i32_e32 v10, 31, v10
	v_and_b32_e32 v4, v4, v38
	v_xor_b32_e32 v38, s39, v10
	v_xor_b32_e32 v10, s38, v10
	v_and_b32_e32 v6, v6, v10
	v_lshlrev_b32_e32 v10, 28, v3
	v_cmp_gt_i64_e64 s[38:39], 0, v[9:10]
	v_not_b32_e32 v10, v10
	v_ashrrev_i32_e32 v10, 31, v10
	v_and_b32_e32 v4, v4, v38
	v_xor_b32_e32 v38, s39, v10
	v_xor_b32_e32 v10, s38, v10
	v_and_b32_e32 v6, v6, v10
	v_lshlrev_b32_e32 v10, 27, v3
	v_cmp_gt_i64_e64 s[38:39], 0, v[9:10]
	v_not_b32_e32 v10, v10
	;; [unrolled: 8-line block ×4, first 2 shown]
	v_ashrrev_i32_e32 v10, 31, v10
	v_and_b32_e32 v4, v4, v38
	v_xor_b32_e32 v38, s39, v10
	v_xor_b32_e32 v10, s38, v10
	v_and_b32_e32 v6, v6, v10
	v_lshlrev_b32_e32 v10, 24, v3
	v_lshlrev_b32_e32 v5, 3, v3
	v_cmp_gt_i64_e64 s[38:39], 0, v[9:10]
	v_not_b32_e32 v3, v10
	v_ashrrev_i32_e32 v3, 31, v3
	v_xor_b32_e32 v10, s39, v3
	v_xor_b32_e32 v3, s38, v3
	v_and_b32_e32 v4, v4, v38
	v_and_b32_e32 v3, v6, v3
	;; [unrolled: 1-line block ×3, first 2 shown]
	v_mbcnt_lo_u32_b32 v6, v3, 0
	v_mbcnt_hi_u32_b32 v38, v4, v6
	v_cmp_ne_u64_e64 s[38:39], 0, v[3:4]
	v_cmp_eq_u32_e64 s[40:41], 0, v38
	s_and_b64 s[40:41], s[40:41], s[38:39]
	v_add_u32_e32 v39, v32, v5
	s_waitcnt lgkmcnt(0)
	s_barrier
	; wave barrier
	s_and_saveexec_b64 s[38:39], s[40:41]
; %bb.4:                                ;   in Loop: Header=BB2_3 Depth=1
	v_bcnt_u32_b32 v3, v3, 0
	v_bcnt_u32_b32 v3, v4, v3
	ds_write_b32 v39, v3 offset:8
; %bb.5:                                ;   in Loop: Header=BB2_3 Depth=1
	s_or_b64 exec, exec, s[38:39]
	v_lshrrev_b32_sdwa v3, s49, v36 dst_sel:DWORD dst_unused:UNUSED_PAD src0_sel:DWORD src1_sel:WORD_1
	v_lshrrev_b32_sdwa v4, s53, v36 dst_sel:DWORD dst_unused:UNUSED_PAD src0_sel:DWORD src1_sel:WORD_0
	v_and_b32_e32 v3, s52, v3
	v_and_b32_e32 v4, s54, v4
	v_lshlrev_b32_e32 v3, s50, v3
	v_lshlrev_b32_e32 v4, s51, v4
	v_cndmask_b32_e32 v3, 0, v3, vcc
	v_cndmask_b32_e64 v4, 0, v4, s[36:37]
	v_or_b32_e32 v3, v3, v4
	v_lshlrev_b32_e32 v4, 3, v3
	v_add_u32_e32 v41, v32, v4
	v_and_b32_e32 v4, 1, v3
	v_add_co_u32_e64 v5, s[38:39], -1, v4
	v_addc_co_u32_e64 v6, s[38:39], 0, -1, s[38:39]
	v_cmp_ne_u32_e64 s[38:39], 0, v4
	v_lshlrev_b32_e32 v10, 30, v3
	v_xor_b32_e32 v4, s39, v6
	v_xor_b32_e32 v5, s38, v5
	v_cmp_gt_i64_e64 s[38:39], 0, v[9:10]
	v_not_b32_e32 v6, v10
	v_ashrrev_i32_e32 v6, 31, v6
	v_and_b32_e32 v4, exec_hi, v4
	v_xor_b32_e32 v10, s39, v6
	v_and_b32_e32 v5, exec_lo, v5
	v_xor_b32_e32 v6, s38, v6
	v_and_b32_e32 v4, v4, v10
	v_lshlrev_b32_e32 v10, 29, v3
	v_and_b32_e32 v5, v5, v6
	v_cmp_gt_i64_e64 s[38:39], 0, v[9:10]
	v_not_b32_e32 v6, v10
	v_ashrrev_i32_e32 v6, 31, v6
	v_xor_b32_e32 v10, s39, v6
	v_xor_b32_e32 v6, s38, v6
	v_and_b32_e32 v4, v4, v10
	v_lshlrev_b32_e32 v10, 28, v3
	v_and_b32_e32 v5, v5, v6
	v_cmp_gt_i64_e64 s[38:39], 0, v[9:10]
	v_not_b32_e32 v6, v10
	v_ashrrev_i32_e32 v6, 31, v6
	v_xor_b32_e32 v10, s39, v6
	;; [unrolled: 8-line block ×5, first 2 shown]
	v_and_b32_e32 v4, v4, v10
	v_lshlrev_b32_e32 v10, 24, v3
	v_xor_b32_e32 v6, s38, v6
	v_cmp_gt_i64_e64 s[38:39], 0, v[9:10]
	v_not_b32_e32 v3, v10
	v_ashrrev_i32_e32 v3, 31, v3
	v_and_b32_e32 v5, v5, v6
	v_xor_b32_e32 v6, s39, v3
	v_xor_b32_e32 v3, s38, v3
	; wave barrier
	ds_read_b32 v40, v41 offset:8
	v_and_b32_e32 v3, v5, v3
	v_and_b32_e32 v4, v4, v6
	v_mbcnt_lo_u32_b32 v5, v3, 0
	v_mbcnt_hi_u32_b32 v42, v4, v5
	v_cmp_ne_u64_e64 s[38:39], 0, v[3:4]
	v_cmp_eq_u32_e64 s[40:41], 0, v42
	s_and_b64 s[40:41], s[40:41], s[38:39]
	; wave barrier
	s_and_saveexec_b64 s[38:39], s[40:41]
	s_cbranch_execz .LBB2_7
; %bb.6:                                ;   in Loop: Header=BB2_3 Depth=1
	v_bcnt_u32_b32 v3, v3, 0
	v_bcnt_u32_b32 v3, v4, v3
	s_waitcnt lgkmcnt(0)
	v_add_u32_e32 v3, v40, v3
	ds_write_b32 v41, v3 offset:8
.LBB2_7:                                ;   in Loop: Header=BB2_3 Depth=1
	s_or_b64 exec, exec, s[38:39]
	v_lshrrev_b32_sdwa v3, s49, v35 dst_sel:DWORD dst_unused:UNUSED_PAD src0_sel:DWORD src1_sel:WORD_1
	v_lshrrev_b32_sdwa v4, s53, v35 dst_sel:DWORD dst_unused:UNUSED_PAD src0_sel:DWORD src1_sel:WORD_0
	v_and_b32_e32 v3, s52, v3
	v_and_b32_e32 v4, s54, v4
	v_lshlrev_b32_e32 v3, s50, v3
	v_lshlrev_b32_e32 v4, s51, v4
	v_cndmask_b32_e32 v3, 0, v3, vcc
	v_cndmask_b32_e64 v4, 0, v4, s[36:37]
	v_or_b32_e32 v3, v3, v4
	v_lshlrev_b32_e32 v4, 3, v3
	v_add_u32_e32 v44, v32, v4
	v_and_b32_e32 v4, 1, v3
	v_add_co_u32_e64 v5, s[38:39], -1, v4
	v_addc_co_u32_e64 v6, s[38:39], 0, -1, s[38:39]
	v_cmp_ne_u32_e64 s[38:39], 0, v4
	v_lshlrev_b32_e32 v10, 30, v3
	v_xor_b32_e32 v4, s39, v6
	v_xor_b32_e32 v5, s38, v5
	v_cmp_gt_i64_e64 s[38:39], 0, v[9:10]
	v_not_b32_e32 v6, v10
	v_ashrrev_i32_e32 v6, 31, v6
	v_and_b32_e32 v4, exec_hi, v4
	v_xor_b32_e32 v10, s39, v6
	v_and_b32_e32 v5, exec_lo, v5
	v_xor_b32_e32 v6, s38, v6
	v_and_b32_e32 v4, v4, v10
	v_lshlrev_b32_e32 v10, 29, v3
	v_and_b32_e32 v5, v5, v6
	v_cmp_gt_i64_e64 s[38:39], 0, v[9:10]
	v_not_b32_e32 v6, v10
	v_ashrrev_i32_e32 v6, 31, v6
	v_xor_b32_e32 v10, s39, v6
	v_xor_b32_e32 v6, s38, v6
	v_and_b32_e32 v4, v4, v10
	v_lshlrev_b32_e32 v10, 28, v3
	v_and_b32_e32 v5, v5, v6
	v_cmp_gt_i64_e64 s[38:39], 0, v[9:10]
	v_not_b32_e32 v6, v10
	v_ashrrev_i32_e32 v6, 31, v6
	v_xor_b32_e32 v10, s39, v6
	;; [unrolled: 8-line block ×5, first 2 shown]
	v_and_b32_e32 v4, v4, v10
	v_lshlrev_b32_e32 v10, 24, v3
	v_xor_b32_e32 v6, s38, v6
	v_cmp_gt_i64_e64 s[38:39], 0, v[9:10]
	v_not_b32_e32 v3, v10
	v_ashrrev_i32_e32 v3, 31, v3
	v_and_b32_e32 v5, v5, v6
	v_xor_b32_e32 v6, s39, v3
	v_xor_b32_e32 v3, s38, v3
	; wave barrier
	ds_read_b32 v43, v44 offset:8
	v_and_b32_e32 v3, v5, v3
	v_and_b32_e32 v4, v4, v6
	v_mbcnt_lo_u32_b32 v5, v3, 0
	v_mbcnt_hi_u32_b32 v45, v4, v5
	v_cmp_ne_u64_e64 s[38:39], 0, v[3:4]
	v_cmp_eq_u32_e64 s[40:41], 0, v45
	s_and_b64 s[40:41], s[40:41], s[38:39]
	; wave barrier
	s_and_saveexec_b64 s[38:39], s[40:41]
	s_cbranch_execz .LBB2_9
; %bb.8:                                ;   in Loop: Header=BB2_3 Depth=1
	v_bcnt_u32_b32 v3, v3, 0
	v_bcnt_u32_b32 v3, v4, v3
	s_waitcnt lgkmcnt(0)
	v_add_u32_e32 v3, v43, v3
	ds_write_b32 v44, v3 offset:8
.LBB2_9:                                ;   in Loop: Header=BB2_3 Depth=1
	s_or_b64 exec, exec, s[38:39]
	v_lshrrev_b32_sdwa v3, s49, v34 dst_sel:DWORD dst_unused:UNUSED_PAD src0_sel:DWORD src1_sel:WORD_1
	v_lshrrev_b32_sdwa v4, s53, v34 dst_sel:DWORD dst_unused:UNUSED_PAD src0_sel:DWORD src1_sel:WORD_0
	v_and_b32_e32 v3, s52, v3
	v_and_b32_e32 v4, s54, v4
	v_lshlrev_b32_e32 v3, s50, v3
	v_lshlrev_b32_e32 v4, s51, v4
	v_cndmask_b32_e32 v3, 0, v3, vcc
	v_cndmask_b32_e64 v4, 0, v4, s[36:37]
	v_or_b32_e32 v3, v3, v4
	v_lshlrev_b32_e32 v4, 3, v3
	v_add_u32_e32 v47, v32, v4
	v_and_b32_e32 v4, 1, v3
	v_add_co_u32_e32 v5, vcc, -1, v4
	v_addc_co_u32_e64 v6, s[36:37], 0, -1, vcc
	v_cmp_ne_u32_e32 vcc, 0, v4
	v_lshlrev_b32_e32 v10, 30, v3
	v_xor_b32_e32 v4, vcc_hi, v6
	v_xor_b32_e32 v5, vcc_lo, v5
	v_cmp_gt_i64_e32 vcc, 0, v[9:10]
	v_not_b32_e32 v6, v10
	v_ashrrev_i32_e32 v6, 31, v6
	v_and_b32_e32 v4, exec_hi, v4
	v_xor_b32_e32 v10, vcc_hi, v6
	v_and_b32_e32 v5, exec_lo, v5
	v_xor_b32_e32 v6, vcc_lo, v6
	v_and_b32_e32 v4, v4, v10
	v_lshlrev_b32_e32 v10, 29, v3
	v_and_b32_e32 v5, v5, v6
	v_cmp_gt_i64_e32 vcc, 0, v[9:10]
	v_not_b32_e32 v6, v10
	v_ashrrev_i32_e32 v6, 31, v6
	v_xor_b32_e32 v10, vcc_hi, v6
	v_xor_b32_e32 v6, vcc_lo, v6
	v_and_b32_e32 v4, v4, v10
	v_lshlrev_b32_e32 v10, 28, v3
	v_and_b32_e32 v5, v5, v6
	v_cmp_gt_i64_e32 vcc, 0, v[9:10]
	v_not_b32_e32 v6, v10
	v_ashrrev_i32_e32 v6, 31, v6
	v_xor_b32_e32 v10, vcc_hi, v6
	;; [unrolled: 8-line block ×5, first 2 shown]
	v_and_b32_e32 v4, v4, v10
	v_lshlrev_b32_e32 v10, 24, v3
	v_xor_b32_e32 v6, vcc_lo, v6
	v_cmp_gt_i64_e32 vcc, 0, v[9:10]
	v_not_b32_e32 v3, v10
	v_ashrrev_i32_e32 v3, 31, v3
	v_and_b32_e32 v5, v5, v6
	v_xor_b32_e32 v6, vcc_hi, v3
	v_xor_b32_e32 v3, vcc_lo, v3
	; wave barrier
	ds_read_b32 v46, v47 offset:8
	v_and_b32_e32 v3, v5, v3
	v_and_b32_e32 v4, v4, v6
	v_mbcnt_lo_u32_b32 v5, v3, 0
	v_mbcnt_hi_u32_b32 v10, v4, v5
	v_cmp_ne_u64_e32 vcc, 0, v[3:4]
	v_cmp_eq_u32_e64 s[36:37], 0, v10
	s_and_b64 s[38:39], s[36:37], vcc
	; wave barrier
	s_and_saveexec_b64 s[36:37], s[38:39]
	s_cbranch_execz .LBB2_11
; %bb.10:                               ;   in Loop: Header=BB2_3 Depth=1
	v_bcnt_u32_b32 v3, v3, 0
	v_bcnt_u32_b32 v3, v4, v3
	s_waitcnt lgkmcnt(0)
	v_add_u32_e32 v3, v46, v3
	ds_write_b32 v47, v3 offset:8
.LBB2_11:                               ;   in Loop: Header=BB2_3 Depth=1
	s_or_b64 exec, exec, s[36:37]
	; wave barrier
	s_waitcnt lgkmcnt(0)
	s_barrier
	ds_read2_b64 v[3:6], v13 offset0:1 offset1:2
	s_waitcnt lgkmcnt(0)
	v_add_u32_e32 v48, v4, v3
	v_add3_u32 v6, v48, v5, v6
	s_nop 1
	v_mov_b32_dpp v48, v6 row_shr:1 row_mask:0xf bank_mask:0xf
	v_cndmask_b32_e64 v48, v48, 0, s[18:19]
	v_add_u32_e32 v6, v48, v6
	s_nop 1
	v_mov_b32_dpp v48, v6 row_shr:2 row_mask:0xf bank_mask:0xf
	v_cndmask_b32_e64 v48, 0, v48, s[20:21]
	v_add_u32_e32 v6, v6, v48
	;; [unrolled: 4-line block ×4, first 2 shown]
	s_nop 1
	v_mov_b32_dpp v48, v6 row_bcast:15 row_mask:0xf bank_mask:0xf
	v_cndmask_b32_e64 v48, v48, 0, s[26:27]
	v_add_u32_e32 v6, v6, v48
	s_nop 1
	v_mov_b32_dpp v48, v6 row_bcast:31 row_mask:0xf bank_mask:0xf
	v_cndmask_b32_e64 v48, 0, v48, s[16:17]
	v_add_u32_e32 v6, v6, v48
	s_and_saveexec_b64 s[36:37], s[28:29]
; %bb.12:                               ;   in Loop: Header=BB2_3 Depth=1
	ds_write_b32 v29, v6
; %bb.13:                               ;   in Loop: Header=BB2_3 Depth=1
	s_or_b64 exec, exec, s[36:37]
	s_waitcnt lgkmcnt(0)
	s_barrier
	s_and_saveexec_b64 s[36:37], s[10:11]
	s_cbranch_execz .LBB2_15
; %bb.14:                               ;   in Loop: Header=BB2_3 Depth=1
	ds_read_b32 v48, v33
	s_waitcnt lgkmcnt(0)
	s_nop 0
	v_mov_b32_dpp v49, v48 row_shr:1 row_mask:0xf bank_mask:0xf
	v_cndmask_b32_e64 v49, v49, 0, s[34:35]
	v_add_u32_e32 v48, v49, v48
	ds_write_b32 v33, v48
.LBB2_15:                               ;   in Loop: Header=BB2_3 Depth=1
	s_or_b64 exec, exec, s[36:37]
	v_mov_b32_e32 v48, 0
	s_waitcnt lgkmcnt(0)
	s_barrier
	s_and_saveexec_b64 s[36:37], s[12:13]
; %bb.16:                               ;   in Loop: Header=BB2_3 Depth=1
	ds_read_b32 v48, v30
; %bb.17:                               ;   in Loop: Header=BB2_3 Depth=1
	s_or_b64 exec, exec, s[36:37]
	s_waitcnt lgkmcnt(0)
	v_add_u32_e32 v6, v48, v6
	ds_bpermute_b32 v6, v28, v6
	v_lshlrev_b32_e32 v38, 2, v38
	s_add_i32 s42, s42, 8
	s_cmp_ge_u32 s42, s43
	s_mov_b64 s[36:37], -1
	s_waitcnt lgkmcnt(0)
	v_cndmask_b32_e64 v6, v6, v48, s[30:31]
	v_cndmask_b32_e64 v48, v6, 0, s[14:15]
	v_add_u32_e32 v49, v48, v3
	v_add_u32_e32 v3, v49, v4
	;; [unrolled: 1-line block ×3, first 2 shown]
	ds_write2_b64 v13, v[48:49], v[3:4] offset0:1 offset1:2
	s_waitcnt lgkmcnt(0)
	s_barrier
	ds_read_b32 v3, v39 offset:8
	ds_read_b32 v4, v41 offset:8
	;; [unrolled: 1-line block ×4, first 2 shown]
	v_lshlrev_b32_e32 v39, 2, v40
	s_waitcnt lgkmcnt(3)
	v_lshl_add_u32 v38, v3, 2, v38
	v_lshlrev_b32_e32 v3, 2, v42
	s_waitcnt lgkmcnt(2)
	v_lshlrev_b32_e32 v4, 2, v4
	v_add3_u32 v39, v3, v39, v4
	v_lshlrev_b32_e32 v3, 2, v45
	v_lshlrev_b32_e32 v4, 2, v43
	s_waitcnt lgkmcnt(1)
	v_lshlrev_b32_e32 v5, 2, v5
	v_add3_u32 v40, v3, v4, v5
	v_lshlrev_b32_e32 v3, 2, v10
	v_lshlrev_b32_e32 v4, 2, v46
	s_waitcnt lgkmcnt(0)
	v_lshlrev_b32_e32 v5, 2, v6
	v_add3_u32 v10, v3, v4, v5
	v_readfirstlane_b32 s38, v0
	v_readfirstlane_b32 s39, v0
                                        ; implicit-def: $vgpr3
                                        ; implicit-def: $vgpr5
	s_cbranch_scc1 .LBB2_2
; %bb.18:                               ;   in Loop: Header=BB2_3 Depth=1
	s_barrier
	ds_write_b32 v38, v37
	ds_write_b32 v39, v36
	;; [unrolled: 1-line block ×4, first 2 shown]
	s_waitcnt lgkmcnt(0)
	s_barrier
	ds_read2st64_b32 v[3:4], v31 offset1:1
	ds_read2st64_b32 v[5:6], v31 offset0:2 offset1:3
	s_add_i32 s38, s48, -8
	s_add_i32 s39, s33, -8
	s_mov_b64 s[36:37], 0
	s_waitcnt lgkmcnt(0)
	s_barrier
	s_branch .LBB2_2
.LBB2_19:
	s_mov_b64 s[18:19], 0
	s_barrier
	ds_write_b32 v38, v37
	ds_write_b32 v39, v36
	ds_write_b32 v40, v35
	ds_write_b32 v10, v34
	s_waitcnt lgkmcnt(0)
	s_barrier
.LBB2_20:
	s_and_b64 vcc, exec, s[18:19]
	s_cbranch_vccz .LBB2_78
; %bb.21:
	ds_bpermute_b32 v3, v27, v23
	ds_bpermute_b32 v4, v27, v24
	;; [unrolled: 1-line block ×4, first 2 shown]
	s_mov_b32 s10, 0
	s_waitcnt lgkmcnt(3)
	v_cndmask_b32_e64 v3, 0, v3, s[0:1]
	s_waitcnt lgkmcnt(2)
	v_cndmask_b32_e64 v3, v3, v4, s[2:3]
	;; [unrolled: 2-line block ×3, first 2 shown]
	s_mov_b32 s12, s10
	s_waitcnt lgkmcnt(0)
	v_cndmask_b32_e64 v9, v3, v6, s[6:7]
	s_mov_b32 s11, s10
	s_mov_b32 s13, s10
	v_mov_b32_e32 v3, s10
	v_mov_b32_e32 v5, s12
	;; [unrolled: 1-line block ×4, first 2 shown]
	s_barrier
	ds_write2_b64 v13, v[3:4], v[5:6] offset0:1 offset1:2
	v_mov_b32_e32 v3, 1
	v_and_b32_sdwa v4, v9, v3 dst_sel:DWORD dst_unused:UNUSED_PAD src0_sel:WORD_1 src1_sel:DWORD
	v_add_co_u32_e32 v5, vcc, -1, v4
	v_addc_co_u32_e64 v6, s[10:11], 0, -1, vcc
	v_cmp_ne_u32_e32 vcc, 0, v4
	v_xor_b32_e32 v4, vcc_hi, v6
	v_mov_b32_e32 v37, 30
	v_mov_b32_e32 v3, 0
	v_and_b32_e32 v6, exec_hi, v4
	v_lshlrev_b32_sdwa v4, v37, v9 dst_sel:DWORD dst_unused:UNUSED_PAD src0_sel:DWORD src1_sel:WORD_1
	v_xor_b32_e32 v5, vcc_lo, v5
	v_cmp_gt_i64_e32 vcc, 0, v[3:4]
	v_not_b32_e32 v4, v4
	v_ashrrev_i32_e32 v4, 31, v4
	v_and_b32_e32 v5, exec_lo, v5
	v_xor_b32_e32 v10, vcc_hi, v4
	v_xor_b32_e32 v4, vcc_lo, v4
	v_mov_b32_e32 v38, 29
	v_and_b32_e32 v5, v5, v4
	v_lshlrev_b32_sdwa v4, v38, v9 dst_sel:DWORD dst_unused:UNUSED_PAD src0_sel:DWORD src1_sel:WORD_1
	v_cmp_gt_i64_e32 vcc, 0, v[3:4]
	v_not_b32_e32 v4, v4
	v_ashrrev_i32_e32 v4, 31, v4
	v_and_b32_e32 v6, v6, v10
	v_xor_b32_e32 v10, vcc_hi, v4
	v_xor_b32_e32 v4, vcc_lo, v4
	v_mov_b32_e32 v39, 28
	v_and_b32_e32 v5, v5, v4
	v_lshlrev_b32_sdwa v4, v39, v9 dst_sel:DWORD dst_unused:UNUSED_PAD src0_sel:DWORD src1_sel:WORD_1
	v_cmp_gt_i64_e32 vcc, 0, v[3:4]
	v_not_b32_e32 v4, v4
	v_ashrrev_i32_e32 v4, 31, v4
	v_and_b32_e32 v6, v6, v10
	;; [unrolled: 9-line block ×4, first 2 shown]
	v_xor_b32_e32 v10, vcc_hi, v4
	v_xor_b32_e32 v4, vcc_lo, v4
	v_mov_b32_e32 v42, 25
	v_and_b32_e32 v5, v5, v4
	v_lshlrev_b32_sdwa v4, v42, v9 dst_sel:DWORD dst_unused:UNUSED_PAD src0_sel:DWORD src1_sel:WORD_1
	v_cmp_gt_i64_e32 vcc, 0, v[3:4]
	v_not_b32_e32 v4, v4
	s_load_dword s4, s[4:5], 0x1c
	v_ashrrev_i32_e32 v4, 31, v4
	v_and_b32_e32 v6, v6, v10
	v_xor_b32_e32 v10, vcc_hi, v4
	v_xor_b32_e32 v4, vcc_lo, v4
	v_mov_b32_e32 v43, 24
	v_and_b32_e32 v6, v6, v10
	v_and_b32_e32 v10, v5, v4
	v_lshlrev_b32_sdwa v4, v43, v9 dst_sel:DWORD dst_unused:UNUSED_PAD src0_sel:DWORD src1_sel:WORD_1
	v_cmp_gt_i64_e32 vcc, 0, v[3:4]
	v_not_b32_e32 v4, v4
	v_ashrrev_i32_e32 v4, 31, v4
	s_waitcnt lgkmcnt(0)
	s_lshr_b32 s5, s4, 16
	v_xor_b32_e32 v5, vcc_hi, v4
	v_mad_u32_u24 v1, v2, s5, v1
	s_and_b32 s4, s4, 0xffff
	v_and_b32_e32 v5, v6, v5
	v_and_or_b32 v6, v20, 63, v17
	v_mad_u32_u24 v1, v1, s4, v0
	v_xor_b32_e32 v4, vcc_lo, v4
	v_lshlrev_b32_e32 v6, 2, v6
	v_lshrrev_b32_e32 v1, 6, v1
	s_movk_i32 s4, 0xff
	ds_bpermute_b32 v31, v21, v23
	ds_bpermute_b32 v32, v21, v24
	v_and_b32_e32 v4, v10, v4
	ds_bpermute_b32 v44, v21, v25
	ds_bpermute_b32 v21, v21, v26
	ds_bpermute_b32 v33, v22, v23
	ds_bpermute_b32 v34, v22, v24
	ds_bpermute_b32 v35, v22, v25
	ds_bpermute_b32 v36, v22, v26
	ds_bpermute_b32 v27, v6, v23
	ds_bpermute_b32 v28, v6, v24
	ds_bpermute_b32 v29, v6, v25
	ds_bpermute_b32 v30, v6, v26
	v_lshlrev_b32_e32 v6, 2, v1
	v_and_b32_sdwa v1, v9, s4 dst_sel:DWORD dst_unused:UNUSED_PAD src0_sel:WORD_1 src1_sel:DWORD
	v_lshl_add_u32 v10, v1, 3, v6
	v_mbcnt_lo_u32_b32 v1, v4, 0
	v_mbcnt_hi_u32_b32 v20, v5, v1
	v_cmp_ne_u64_e32 vcc, 0, v[4:5]
	v_cmp_eq_u32_e64 s[4:5], 0, v20
	s_and_b64 s[10:11], s[4:5], vcc
	s_waitcnt lgkmcnt(0)
	s_barrier
	; wave barrier
	s_and_saveexec_b64 s[4:5], s[10:11]
; %bb.22:
	v_bcnt_u32_b32 v1, v4, 0
	v_bcnt_u32_b32 v1, v5, v1
	ds_write_b32 v10, v1 offset:8
; %bb.23:
	s_or_b64 exec, exec, s[4:5]
	v_cndmask_b32_e64 v1, 0, v31, s[0:1]
	v_cndmask_b32_e64 v1, v1, v32, s[2:3]
	v_cndmask_b32_e64 v1, v1, v44, s[8:9]
	v_cndmask_b32_e64 v5, v1, v21, s[6:7]
	v_bfe_u32 v1, v5, 16, 8
	v_lshl_add_u32 v22, v1, 3, v6
	v_bfe_u32 v1, v5, 16, 1
	v_add_co_u32_e32 v2, vcc, -1, v1
	v_addc_co_u32_e64 v4, s[4:5], 0, -1, vcc
	v_cmp_ne_u32_e32 vcc, 0, v1
	v_xor_b32_e32 v1, vcc_hi, v4
	v_lshlrev_b32_sdwa v4, v37, v5 dst_sel:DWORD dst_unused:UNUSED_PAD src0_sel:DWORD src1_sel:WORD_1
	v_xor_b32_e32 v2, vcc_lo, v2
	v_cmp_gt_i64_e32 vcc, 0, v[3:4]
	v_not_b32_e32 v4, v4
	v_ashrrev_i32_e32 v4, 31, v4
	v_and_b32_e32 v2, exec_lo, v2
	v_xor_b32_e32 v23, vcc_hi, v4
	v_xor_b32_e32 v4, vcc_lo, v4
	v_and_b32_e32 v2, v2, v4
	v_lshlrev_b32_sdwa v4, v38, v5 dst_sel:DWORD dst_unused:UNUSED_PAD src0_sel:DWORD src1_sel:WORD_1
	v_cmp_gt_i64_e32 vcc, 0, v[3:4]
	v_not_b32_e32 v4, v4
	v_and_b32_e32 v1, exec_hi, v1
	v_ashrrev_i32_e32 v4, 31, v4
	v_and_b32_e32 v1, v1, v23
	v_xor_b32_e32 v23, vcc_hi, v4
	v_xor_b32_e32 v4, vcc_lo, v4
	v_and_b32_e32 v2, v2, v4
	v_lshlrev_b32_sdwa v4, v39, v5 dst_sel:DWORD dst_unused:UNUSED_PAD src0_sel:DWORD src1_sel:WORD_1
	v_cmp_gt_i64_e32 vcc, 0, v[3:4]
	v_not_b32_e32 v4, v4
	v_ashrrev_i32_e32 v4, 31, v4
	v_and_b32_e32 v1, v1, v23
	v_xor_b32_e32 v23, vcc_hi, v4
	v_xor_b32_e32 v4, vcc_lo, v4
	v_and_b32_e32 v2, v2, v4
	v_lshlrev_b32_sdwa v4, v40, v5 dst_sel:DWORD dst_unused:UNUSED_PAD src0_sel:DWORD src1_sel:WORD_1
	v_cmp_gt_i64_e32 vcc, 0, v[3:4]
	v_not_b32_e32 v4, v4
	v_ashrrev_i32_e32 v4, 31, v4
	v_and_b32_e32 v1, v1, v23
	v_xor_b32_e32 v23, vcc_hi, v4
	v_xor_b32_e32 v4, vcc_lo, v4
	v_and_b32_e32 v2, v2, v4
	v_lshlrev_b32_sdwa v4, v41, v5 dst_sel:DWORD dst_unused:UNUSED_PAD src0_sel:DWORD src1_sel:WORD_1
	v_cmp_gt_i64_e32 vcc, 0, v[3:4]
	v_not_b32_e32 v4, v4
	v_ashrrev_i32_e32 v4, 31, v4
	v_and_b32_e32 v1, v1, v23
	v_xor_b32_e32 v23, vcc_hi, v4
	v_xor_b32_e32 v4, vcc_lo, v4
	v_and_b32_e32 v2, v2, v4
	v_lshlrev_b32_sdwa v4, v42, v5 dst_sel:DWORD dst_unused:UNUSED_PAD src0_sel:DWORD src1_sel:WORD_1
	v_cmp_gt_i64_e32 vcc, 0, v[3:4]
	v_not_b32_e32 v4, v4
	v_ashrrev_i32_e32 v4, 31, v4
	v_and_b32_e32 v1, v1, v23
	v_xor_b32_e32 v23, vcc_hi, v4
	v_xor_b32_e32 v4, vcc_lo, v4
	v_and_b32_e32 v1, v1, v23
	v_and_b32_e32 v23, v2, v4
	v_lshlrev_b32_sdwa v4, v43, v5 dst_sel:DWORD dst_unused:UNUSED_PAD src0_sel:DWORD src1_sel:WORD_1
	v_cmp_gt_i64_e32 vcc, 0, v[3:4]
	v_not_b32_e32 v2, v4
	v_ashrrev_i32_e32 v2, 31, v2
	v_xor_b32_e32 v3, vcc_hi, v2
	v_xor_b32_e32 v4, vcc_lo, v2
	; wave barrier
	ds_read_b32 v21, v22 offset:8
	v_and_b32_e32 v2, v1, v3
	v_and_b32_e32 v1, v23, v4
	v_mbcnt_lo_u32_b32 v3, v1, 0
	v_mbcnt_hi_u32_b32 v23, v2, v3
	v_cmp_ne_u64_e32 vcc, 0, v[1:2]
	v_cmp_eq_u32_e64 s[4:5], 0, v23
	s_and_b64 s[10:11], vcc, s[4:5]
	; wave barrier
	s_and_saveexec_b64 s[4:5], s[10:11]
	s_cbranch_execz .LBB2_25
; %bb.24:
	v_bcnt_u32_b32 v1, v1, 0
	v_bcnt_u32_b32 v1, v2, v1
	s_waitcnt lgkmcnt(0)
	v_add_u32_e32 v1, v21, v1
	ds_write_b32 v22, v1 offset:8
.LBB2_25:
	s_or_b64 exec, exec, s[4:5]
	v_cndmask_b32_e64 v1, 0, v33, s[0:1]
	v_cndmask_b32_e64 v1, v1, v34, s[2:3]
	;; [unrolled: 1-line block ×4, first 2 shown]
	v_bfe_u32 v2, v24, 16, 1
	v_add_co_u32_e32 v3, vcc, -1, v2
	v_addc_co_u32_e64 v4, s[4:5], 0, -1, vcc
	v_cmp_ne_u32_e32 vcc, 0, v2
	v_bfe_u32 v1, v24, 16, 8
	v_xor_b32_e32 v2, vcc_hi, v4
	v_mov_b32_e32 v4, 30
	v_lshl_add_u32 v26, v1, 3, v6
	v_mov_b32_e32 v1, 0
	v_and_b32_e32 v31, exec_hi, v2
	v_lshlrev_b32_sdwa v2, v4, v24 dst_sel:DWORD dst_unused:UNUSED_PAD src0_sel:DWORD src1_sel:WORD_1
	v_xor_b32_e32 v3, vcc_lo, v3
	v_cmp_gt_i64_e32 vcc, 0, v[1:2]
	v_not_b32_e32 v2, v2
	v_ashrrev_i32_e32 v2, 31, v2
	v_and_b32_e32 v3, exec_lo, v3
	v_xor_b32_e32 v32, vcc_hi, v2
	v_xor_b32_e32 v2, vcc_lo, v2
	v_mov_b32_e32 v33, 29
	v_and_b32_e32 v3, v3, v2
	v_lshlrev_b32_sdwa v2, v33, v24 dst_sel:DWORD dst_unused:UNUSED_PAD src0_sel:DWORD src1_sel:WORD_1
	v_cmp_gt_i64_e32 vcc, 0, v[1:2]
	v_not_b32_e32 v2, v2
	v_ashrrev_i32_e32 v2, 31, v2
	v_and_b32_e32 v31, v31, v32
	v_xor_b32_e32 v32, vcc_hi, v2
	v_xor_b32_e32 v2, vcc_lo, v2
	v_mov_b32_e32 v34, 28
	v_and_b32_e32 v3, v3, v2
	v_lshlrev_b32_sdwa v2, v34, v24 dst_sel:DWORD dst_unused:UNUSED_PAD src0_sel:DWORD src1_sel:WORD_1
	v_cmp_gt_i64_e32 vcc, 0, v[1:2]
	v_not_b32_e32 v2, v2
	v_ashrrev_i32_e32 v2, 31, v2
	v_and_b32_e32 v31, v31, v32
	;; [unrolled: 9-line block ×5, first 2 shown]
	v_xor_b32_e32 v32, vcc_hi, v2
	v_xor_b32_e32 v2, vcc_lo, v2
	v_mov_b32_e32 v38, 24
	v_and_b32_e32 v31, v31, v32
	v_and_b32_e32 v32, v3, v2
	v_lshlrev_b32_sdwa v2, v38, v24 dst_sel:DWORD dst_unused:UNUSED_PAD src0_sel:DWORD src1_sel:WORD_1
	v_cmp_gt_i64_e32 vcc, 0, v[1:2]
	v_not_b32_e32 v2, v2
	v_ashrrev_i32_e32 v2, 31, v2
	v_xor_b32_e32 v3, vcc_hi, v2
	v_xor_b32_e32 v2, vcc_lo, v2
	; wave barrier
	ds_read_b32 v25, v26 offset:8
	v_and_b32_e32 v2, v32, v2
	v_and_b32_e32 v3, v31, v3
	v_mbcnt_lo_u32_b32 v31, v2, 0
	v_mbcnt_hi_u32_b32 v31, v3, v31
	v_cmp_ne_u64_e32 vcc, 0, v[2:3]
	v_cmp_eq_u32_e64 s[4:5], 0, v31
	s_and_b64 s[10:11], vcc, s[4:5]
	; wave barrier
	s_and_saveexec_b64 s[4:5], s[10:11]
	s_cbranch_execz .LBB2_27
; %bb.26:
	v_bcnt_u32_b32 v2, v2, 0
	v_bcnt_u32_b32 v2, v3, v2
	s_waitcnt lgkmcnt(0)
	v_add_u32_e32 v2, v25, v2
	ds_write_b32 v26, v2 offset:8
.LBB2_27:
	s_or_b64 exec, exec, s[4:5]
	v_cndmask_b32_e64 v2, 0, v27, s[0:1]
	v_cndmask_b32_e64 v2, v2, v28, s[2:3]
	;; [unrolled: 1-line block ×4, first 2 shown]
	v_bfe_u32 v2, v27, 16, 8
	v_lshl_add_u32 v29, v2, 3, v6
	v_bfe_u32 v2, v27, 16, 1
	v_add_co_u32_e32 v3, vcc, -1, v2
	v_addc_co_u32_e64 v30, s[0:1], 0, -1, vcc
	v_cmp_ne_u32_e32 vcc, 0, v2
	v_xor_b32_e32 v2, vcc_hi, v30
	v_and_b32_e32 v30, exec_hi, v2
	v_lshlrev_b32_sdwa v2, v4, v27 dst_sel:DWORD dst_unused:UNUSED_PAD src0_sel:DWORD src1_sel:WORD_1
	v_xor_b32_e32 v3, vcc_lo, v3
	v_cmp_gt_i64_e32 vcc, 0, v[1:2]
	v_not_b32_e32 v2, v2
	v_ashrrev_i32_e32 v2, 31, v2
	v_and_b32_e32 v3, exec_lo, v3
	v_xor_b32_e32 v4, vcc_hi, v2
	v_xor_b32_e32 v2, vcc_lo, v2
	v_and_b32_e32 v3, v3, v2
	v_lshlrev_b32_sdwa v2, v33, v27 dst_sel:DWORD dst_unused:UNUSED_PAD src0_sel:DWORD src1_sel:WORD_1
	v_cmp_gt_i64_e32 vcc, 0, v[1:2]
	v_not_b32_e32 v2, v2
	v_ashrrev_i32_e32 v2, 31, v2
	v_and_b32_e32 v4, v30, v4
	v_xor_b32_e32 v30, vcc_hi, v2
	v_xor_b32_e32 v2, vcc_lo, v2
	v_and_b32_e32 v3, v3, v2
	v_lshlrev_b32_sdwa v2, v34, v27 dst_sel:DWORD dst_unused:UNUSED_PAD src0_sel:DWORD src1_sel:WORD_1
	v_cmp_gt_i64_e32 vcc, 0, v[1:2]
	v_not_b32_e32 v2, v2
	v_ashrrev_i32_e32 v2, 31, v2
	v_and_b32_e32 v4, v4, v30
	;; [unrolled: 8-line block ×5, first 2 shown]
	v_xor_b32_e32 v30, vcc_hi, v2
	v_xor_b32_e32 v2, vcc_lo, v2
	v_and_b32_e32 v3, v3, v2
	v_lshlrev_b32_sdwa v2, v38, v27 dst_sel:DWORD dst_unused:UNUSED_PAD src0_sel:DWORD src1_sel:WORD_1
	v_cmp_gt_i64_e32 vcc, 0, v[1:2]
	v_not_b32_e32 v1, v2
	v_ashrrev_i32_e32 v1, 31, v1
	v_xor_b32_e32 v2, vcc_hi, v1
	v_xor_b32_e32 v1, vcc_lo, v1
	; wave barrier
	ds_read_b32 v28, v29 offset:8
	v_and_b32_e32 v4, v4, v30
	v_and_b32_e32 v1, v3, v1
	;; [unrolled: 1-line block ×3, first 2 shown]
	v_mbcnt_lo_u32_b32 v3, v1, 0
	v_mbcnt_hi_u32_b32 v30, v2, v3
	v_cmp_ne_u64_e32 vcc, 0, v[1:2]
	v_cmp_eq_u32_e64 s[0:1], 0, v30
	v_and_b32_e32 v32, 64, v0
	s_and_b64 s[2:3], vcc, s[0:1]
	; wave barrier
	s_and_saveexec_b64 s[0:1], s[2:3]
	s_cbranch_execz .LBB2_29
; %bb.28:
	v_bcnt_u32_b32 v1, v1, 0
	v_bcnt_u32_b32 v1, v2, v1
	s_waitcnt lgkmcnt(0)
	v_add_u32_e32 v1, v28, v1
	ds_write_b32 v29, v1 offset:8
.LBB2_29:
	s_or_b64 exec, exec, s[0:1]
	; wave barrier
	s_waitcnt lgkmcnt(0)
	s_barrier
	ds_read2_b64 v[1:4], v13 offset0:1 offset1:2
	v_cmp_eq_u32_e64 s[2:3], 0, v19
	v_or_b32_e32 v19, 63, v32
	v_cmp_eq_u32_e32 vcc, v0, v19
	v_cmp_eq_u32_e64 s[6:7], 0, v16
	s_waitcnt lgkmcnt(0)
	v_add_u32_e32 v19, v2, v1
	v_add3_u32 v4, v19, v3, v4
	v_cmp_lt_u32_e64 s[8:9], 1, v16
	v_cmp_lt_u32_e64 s[12:13], 3, v16
	v_mov_b32_dpp v19, v4 row_shr:1 row_mask:0xf bank_mask:0xf
	v_cndmask_b32_e64 v19, v19, 0, s[6:7]
	v_add_u32_e32 v4, v19, v4
	v_cmp_lt_u32_e64 s[14:15], 7, v16
	v_bfe_i32 v33, v18, 4, 1
	v_mov_b32_dpp v19, v4 row_shr:2 row_mask:0xf bank_mask:0xf
	v_cndmask_b32_e64 v19, 0, v19, s[8:9]
	v_add_u32_e32 v4, v4, v19
	v_cmp_lt_u32_e64 s[18:19], 31, v18
	v_and_b32_e32 v14, 4, v14
	v_mov_b32_dpp v19, v4 row_shr:4 row_mask:0xf bank_mask:0xf
	v_cndmask_b32_e64 v19, 0, v19, s[12:13]
	v_add_u32_e32 v4, v4, v19
	s_nop 1
	v_mov_b32_dpp v19, v4 row_shr:8 row_mask:0xf bank_mask:0xf
	v_cndmask_b32_e64 v16, 0, v19, s[14:15]
	v_add_u32_e32 v4, v4, v16
	s_nop 1
	v_mov_b32_dpp v16, v4 row_bcast:15 row_mask:0xf bank_mask:0xf
	v_and_b32_e32 v16, v33, v16
	v_add_u32_e32 v4, v4, v16
	s_nop 1
	v_mov_b32_dpp v16, v4 row_bcast:31 row_mask:0xf bank_mask:0xf
	v_cndmask_b32_e64 v16, 0, v16, s[18:19]
	v_add_u32_e32 v4, v4, v16
	s_and_saveexec_b64 s[0:1], vcc
; %bb.30:
	ds_write_b32 v14, v4
; %bb.31:
	s_or_b64 exec, exec, s[0:1]
	v_cmp_gt_u32_e64 s[10:11], 2, v0
	v_cmp_eq_u32_e64 s[4:5], 0, v15
	v_add_u32_e32 v15, v13, v11
	s_waitcnt lgkmcnt(0)
	s_barrier
	s_and_saveexec_b64 s[0:1], s[10:11]
	s_cbranch_execz .LBB2_33
; %bb.32:
	ds_read_b32 v11, v15
	s_waitcnt lgkmcnt(0)
	s_nop 0
	v_mov_b32_dpp v16, v11 row_shr:1 row_mask:0xf bank_mask:0xf
	v_cndmask_b32_e64 v16, v16, 0, s[4:5]
	v_add_u32_e32 v11, v16, v11
	ds_write_b32 v15, v11
.LBB2_33:
	s_or_b64 exec, exec, s[0:1]
	v_subrev_co_u32_e64 v32, s[0:1], 1, v18
	v_cmp_lt_u32_e64 s[16:17], 63, v0
	v_add_u32_e32 v16, -4, v14
	v_mov_b32_e32 v11, 0
	v_mov_b32_e32 v19, 0
	s_waitcnt lgkmcnt(0)
	s_barrier
	s_and_saveexec_b64 s[20:21], s[16:17]
; %bb.34:
	ds_read_b32 v19, v16
; %bb.35:
	s_or_b64 exec, exec, s[20:21]
	v_cmp_lt_i32_e64 s[20:21], v32, v17
	v_cndmask_b32_e64 v17, v32, v18, s[20:21]
	v_lshlrev_b32_e32 v17, 2, v17
	s_waitcnt lgkmcnt(0)
	v_add_u32_e32 v4, v19, v4
	ds_bpermute_b32 v4, v17, v4
	s_movk_i32 s20, 0x100
	v_and_or_b32 v12, v12, s20, v18
	v_cmp_eq_u32_e64 s[20:21], 0, v0
	v_lshlrev_b32_e32 v18, 2, v12
	s_waitcnt lgkmcnt(0)
	v_cndmask_b32_e64 v4, v4, v19, s[0:1]
	v_cndmask_b32_e64 v0, v4, 0, s[20:21]
	v_add_u32_e32 v1, v0, v1
	v_add_u32_e32 v2, v1, v2
	;; [unrolled: 1-line block ×3, first 2 shown]
	ds_write2_b64 v13, v[0:1], v[2:3] offset0:1 offset1:2
	s_waitcnt lgkmcnt(0)
	s_barrier
	ds_read_b32 v0, v29 offset:8
	ds_read_b32 v1, v26 offset:8
	;; [unrolled: 1-line block ×4, first 2 shown]
	v_lshlrev_b32_e32 v4, 2, v20
	s_waitcnt lgkmcnt(0)
	s_barrier
	v_lshl_add_u32 v3, v3, 2, v4
	ds_write_b32 v3, v9
	v_lshlrev_b32_e32 v3, 2, v23
	v_lshlrev_b32_e32 v4, 2, v21
	v_lshlrev_b32_e32 v2, 2, v2
	v_add3_u32 v2, v3, v4, v2
	ds_write_b32 v2, v5
	v_lshlrev_b32_e32 v2, 2, v31
	v_lshlrev_b32_e32 v3, 2, v25
	v_lshlrev_b32_e32 v1, 2, v1
	v_add3_u32 v1, v2, v3, v1
	;; [unrolled: 5-line block ×3, first 2 shown]
	s_mov_b32 s22, 0
	ds_write_b32 v0, v27
	s_waitcnt lgkmcnt(0)
	s_barrier
	ds_read2st64_b32 v[9:10], v18 offset1:1
	ds_read2st64_b32 v[4:5], v18 offset0:2 offset1:3
	s_mov_b32 s24, s22
	s_mov_b32 s23, s22
	;; [unrolled: 1-line block ×3, first 2 shown]
	v_mov_b32_e32 v0, s22
	v_mov_b32_e32 v2, s24
	v_mov_b32_e32 v1, s23
	v_mov_b32_e32 v3, s25
	s_waitcnt lgkmcnt(0)
	s_barrier
	ds_write2_b64 v13, v[0:1], v[2:3] offset0:1 offset1:2
	v_lshrrev_b32_e32 v0, 24, v9
	v_and_b32_e32 v1, 1, v0
	v_add_co_u32_e64 v2, s[22:23], -1, v1
	v_addc_co_u32_e64 v3, s[22:23], 0, -1, s[22:23]
	v_cmp_ne_u32_e64 s[22:23], 0, v1
	v_lshlrev_b32_e32 v12, 30, v0
	v_xor_b32_e32 v1, s23, v3
	v_xor_b32_e32 v2, s22, v2
	v_cmp_gt_i64_e64 s[22:23], 0, v[11:12]
	v_not_b32_e32 v3, v12
	v_ashrrev_i32_e32 v3, 31, v3
	v_and_b32_e32 v1, exec_hi, v1
	v_xor_b32_e32 v12, s23, v3
	v_and_b32_e32 v2, exec_lo, v2
	v_xor_b32_e32 v3, s22, v3
	v_and_b32_e32 v1, v1, v12
	v_lshlrev_b32_e32 v12, 29, v0
	v_and_b32_e32 v2, v2, v3
	v_cmp_gt_i64_e64 s[22:23], 0, v[11:12]
	v_not_b32_e32 v3, v12
	v_ashrrev_i32_e32 v3, 31, v3
	v_xor_b32_e32 v12, s23, v3
	v_xor_b32_e32 v3, s22, v3
	v_and_b32_e32 v1, v1, v12
	v_lshlrev_b32_e32 v12, 28, v0
	v_and_b32_e32 v2, v2, v3
	v_cmp_gt_i64_e64 s[22:23], 0, v[11:12]
	v_not_b32_e32 v3, v12
	v_ashrrev_i32_e32 v3, 31, v3
	v_xor_b32_e32 v12, s23, v3
	;; [unrolled: 8-line block ×5, first 2 shown]
	v_and_b32_e32 v1, v1, v12
	v_lshlrev_b32_e32 v12, 24, v0
	v_lshl_add_u32 v19, v0, 3, v6
	v_xor_b32_e32 v3, s22, v3
	v_cmp_gt_i64_e64 s[22:23], 0, v[11:12]
	v_not_b32_e32 v0, v12
	v_ashrrev_i32_e32 v0, 31, v0
	v_and_b32_e32 v2, v2, v3
	v_xor_b32_e32 v3, s23, v0
	v_xor_b32_e32 v0, s22, v0
	v_and_b32_e32 v0, v2, v0
	v_and_b32_e32 v1, v1, v3
	v_mbcnt_lo_u32_b32 v2, v0, 0
	v_mbcnt_hi_u32_b32 v12, v1, v2
	v_cmp_ne_u64_e64 s[22:23], 0, v[0:1]
	v_cmp_eq_u32_e64 s[24:25], 0, v12
	s_and_b64 s[24:25], s[22:23], s[24:25]
	s_waitcnt lgkmcnt(0)
	s_barrier
	; wave barrier
	s_and_saveexec_b64 s[22:23], s[24:25]
; %bb.36:
	v_bcnt_u32_b32 v0, v0, 0
	v_bcnt_u32_b32 v0, v1, v0
	ds_write_b32 v19, v0 offset:8
; %bb.37:
	s_or_b64 exec, exec, s[22:23]
	v_bfe_u32 v1, v10, 24, 1
	v_add_co_u32_e64 v3, s[22:23], -1, v1
	v_addc_co_u32_e64 v11, s[22:23], 0, -1, s[22:23]
	v_cmp_ne_u32_e64 s[22:23], 0, v1
	v_lshrrev_b32_e32 v2, 24, v10
	v_xor_b32_e32 v1, s23, v11
	v_mov_b32_e32 v0, 0
	v_and_b32_e32 v11, exec_hi, v1
	v_lshlrev_b32_e32 v1, 30, v2
	v_xor_b32_e32 v3, s22, v3
	v_cmp_gt_i64_e64 s[22:23], 0, v[0:1]
	v_not_b32_e32 v1, v1
	v_ashrrev_i32_e32 v1, 31, v1
	v_and_b32_e32 v3, exec_lo, v3
	v_xor_b32_e32 v22, s23, v1
	v_xor_b32_e32 v1, s22, v1
	v_and_b32_e32 v3, v3, v1
	v_lshlrev_b32_e32 v1, 29, v2
	v_cmp_gt_i64_e64 s[22:23], 0, v[0:1]
	v_not_b32_e32 v1, v1
	v_ashrrev_i32_e32 v1, 31, v1
	v_and_b32_e32 v11, v11, v22
	v_xor_b32_e32 v22, s23, v1
	v_xor_b32_e32 v1, s22, v1
	v_and_b32_e32 v3, v3, v1
	v_lshlrev_b32_e32 v1, 28, v2
	v_cmp_gt_i64_e64 s[22:23], 0, v[0:1]
	v_not_b32_e32 v1, v1
	v_ashrrev_i32_e32 v1, 31, v1
	v_and_b32_e32 v11, v11, v22
	;; [unrolled: 8-line block ×4, first 2 shown]
	v_xor_b32_e32 v22, s23, v1
	v_xor_b32_e32 v1, s22, v1
	v_and_b32_e32 v3, v3, v1
	v_lshlrev_b32_e32 v1, 25, v2
	v_cmp_gt_i64_e64 s[22:23], 0, v[0:1]
	v_not_b32_e32 v1, v1
	v_ashrrev_i32_e32 v1, 31, v1
	v_lshl_add_u32 v21, v2, 3, v6
	v_xor_b32_e32 v2, s23, v1
	v_xor_b32_e32 v1, s22, v1
	v_and_b32_e32 v3, v3, v1
	v_and_b32_e32 v1, 0xff000000, v10
	v_cmp_gt_i64_e64 s[22:23], 0, v[0:1]
	v_not_b32_e32 v1, v1
	v_and_b32_e32 v11, v11, v22
	v_ashrrev_i32_e32 v1, 31, v1
	v_and_b32_e32 v2, v11, v2
	v_xor_b32_e32 v11, s23, v1
	v_xor_b32_e32 v1, s22, v1
	; wave barrier
	ds_read_b32 v20, v21 offset:8
	v_and_b32_e32 v1, v3, v1
	v_and_b32_e32 v2, v2, v11
	v_mbcnt_lo_u32_b32 v3, v1, 0
	v_mbcnt_hi_u32_b32 v22, v2, v3
	v_cmp_ne_u64_e64 s[22:23], 0, v[1:2]
	v_cmp_eq_u32_e64 s[24:25], 0, v22
	s_and_b64 s[24:25], s[22:23], s[24:25]
	; wave barrier
	s_and_saveexec_b64 s[22:23], s[24:25]
	s_cbranch_execz .LBB2_39
; %bb.38:
	v_bcnt_u32_b32 v1, v1, 0
	v_bcnt_u32_b32 v1, v2, v1
	s_waitcnt lgkmcnt(0)
	v_add_u32_e32 v1, v20, v1
	ds_write_b32 v21, v1 offset:8
.LBB2_39:
	s_or_b64 exec, exec, s[22:23]
	v_bfe_u32 v1, v4, 24, 1
	v_add_co_u32_e64 v3, s[22:23], -1, v1
	v_addc_co_u32_e64 v11, s[22:23], 0, -1, s[22:23]
	v_cmp_ne_u32_e64 s[22:23], 0, v1
	v_lshrrev_b32_e32 v2, 24, v4
	v_xor_b32_e32 v1, s23, v11
	v_and_b32_e32 v11, exec_hi, v1
	v_lshlrev_b32_e32 v1, 30, v2
	v_xor_b32_e32 v3, s22, v3
	v_cmp_gt_i64_e64 s[22:23], 0, v[0:1]
	v_not_b32_e32 v1, v1
	v_ashrrev_i32_e32 v1, 31, v1
	v_and_b32_e32 v3, exec_lo, v3
	v_xor_b32_e32 v25, s23, v1
	v_xor_b32_e32 v1, s22, v1
	v_and_b32_e32 v3, v3, v1
	v_lshlrev_b32_e32 v1, 29, v2
	v_cmp_gt_i64_e64 s[22:23], 0, v[0:1]
	v_not_b32_e32 v1, v1
	v_ashrrev_i32_e32 v1, 31, v1
	v_and_b32_e32 v11, v11, v25
	v_xor_b32_e32 v25, s23, v1
	v_xor_b32_e32 v1, s22, v1
	v_and_b32_e32 v3, v3, v1
	v_lshlrev_b32_e32 v1, 28, v2
	v_cmp_gt_i64_e64 s[22:23], 0, v[0:1]
	v_not_b32_e32 v1, v1
	v_ashrrev_i32_e32 v1, 31, v1
	v_and_b32_e32 v11, v11, v25
	;; [unrolled: 8-line block ×4, first 2 shown]
	v_xor_b32_e32 v25, s23, v1
	v_xor_b32_e32 v1, s22, v1
	v_and_b32_e32 v3, v3, v1
	v_lshlrev_b32_e32 v1, 25, v2
	v_cmp_gt_i64_e64 s[22:23], 0, v[0:1]
	v_not_b32_e32 v1, v1
	v_ashrrev_i32_e32 v1, 31, v1
	v_lshl_add_u32 v24, v2, 3, v6
	v_xor_b32_e32 v2, s23, v1
	v_xor_b32_e32 v1, s22, v1
	v_and_b32_e32 v3, v3, v1
	v_and_b32_e32 v1, 0xff000000, v4
	v_cmp_gt_i64_e64 s[22:23], 0, v[0:1]
	v_not_b32_e32 v0, v1
	v_ashrrev_i32_e32 v0, 31, v0
	v_and_b32_e32 v11, v11, v25
	v_xor_b32_e32 v1, s23, v0
	v_xor_b32_e32 v0, s22, v0
	; wave barrier
	ds_read_b32 v23, v24 offset:8
	v_and_b32_e32 v2, v11, v2
	v_and_b32_e32 v0, v3, v0
	;; [unrolled: 1-line block ×3, first 2 shown]
	v_mbcnt_lo_u32_b32 v2, v0, 0
	v_mbcnt_hi_u32_b32 v25, v1, v2
	v_cmp_ne_u64_e64 s[22:23], 0, v[0:1]
	v_cmp_eq_u32_e64 s[24:25], 0, v25
	s_and_b64 s[24:25], s[22:23], s[24:25]
	; wave barrier
	s_and_saveexec_b64 s[22:23], s[24:25]
	s_cbranch_execz .LBB2_41
; %bb.40:
	v_bcnt_u32_b32 v0, v0, 0
	v_bcnt_u32_b32 v0, v1, v0
	s_waitcnt lgkmcnt(0)
	v_add_u32_e32 v0, v23, v0
	ds_write_b32 v24, v0 offset:8
.LBB2_41:
	s_or_b64 exec, exec, s[22:23]
	v_bfe_u32 v1, v5, 24, 1
	v_add_co_u32_e64 v3, s[22:23], -1, v1
	v_addc_co_u32_e64 v11, s[22:23], 0, -1, s[22:23]
	v_cmp_ne_u32_e64 s[22:23], 0, v1
	v_lshrrev_b32_e32 v2, 24, v5
	v_xor_b32_e32 v1, s23, v11
	v_mov_b32_e32 v0, 0
	v_and_b32_e32 v11, exec_hi, v1
	v_lshlrev_b32_e32 v1, 30, v2
	v_xor_b32_e32 v3, s22, v3
	v_cmp_gt_i64_e64 s[22:23], 0, v[0:1]
	v_not_b32_e32 v1, v1
	v_ashrrev_i32_e32 v1, 31, v1
	v_and_b32_e32 v3, exec_lo, v3
	v_xor_b32_e32 v28, s23, v1
	v_xor_b32_e32 v1, s22, v1
	v_and_b32_e32 v3, v3, v1
	v_lshlrev_b32_e32 v1, 29, v2
	v_cmp_gt_i64_e64 s[22:23], 0, v[0:1]
	v_not_b32_e32 v1, v1
	v_ashrrev_i32_e32 v1, 31, v1
	v_and_b32_e32 v11, v11, v28
	v_xor_b32_e32 v28, s23, v1
	v_xor_b32_e32 v1, s22, v1
	v_and_b32_e32 v3, v3, v1
	v_lshlrev_b32_e32 v1, 28, v2
	v_cmp_gt_i64_e64 s[22:23], 0, v[0:1]
	v_not_b32_e32 v1, v1
	v_ashrrev_i32_e32 v1, 31, v1
	v_and_b32_e32 v11, v11, v28
	;; [unrolled: 8-line block ×4, first 2 shown]
	v_xor_b32_e32 v28, s23, v1
	v_xor_b32_e32 v1, s22, v1
	v_and_b32_e32 v3, v3, v1
	v_lshlrev_b32_e32 v1, 25, v2
	v_cmp_gt_i64_e64 s[22:23], 0, v[0:1]
	v_not_b32_e32 v1, v1
	v_ashrrev_i32_e32 v1, 31, v1
	v_lshl_add_u32 v27, v2, 3, v6
	v_xor_b32_e32 v2, s23, v1
	v_xor_b32_e32 v1, s22, v1
	v_and_b32_e32 v3, v3, v1
	v_and_b32_e32 v1, 0xff000000, v5
	v_cmp_gt_i64_e64 s[22:23], 0, v[0:1]
	v_not_b32_e32 v0, v1
	v_ashrrev_i32_e32 v0, 31, v0
	v_and_b32_e32 v11, v11, v28
	v_xor_b32_e32 v1, s23, v0
	v_xor_b32_e32 v0, s22, v0
	; wave barrier
	ds_read_b32 v26, v27 offset:8
	v_and_b32_e32 v2, v11, v2
	v_and_b32_e32 v0, v3, v0
	v_and_b32_e32 v1, v2, v1
	v_mbcnt_lo_u32_b32 v2, v0, 0
	v_mbcnt_hi_u32_b32 v28, v1, v2
	v_cmp_ne_u64_e64 s[22:23], 0, v[0:1]
	v_cmp_eq_u32_e64 s[24:25], 0, v28
	s_and_b64 s[24:25], s[22:23], s[24:25]
	; wave barrier
	s_and_saveexec_b64 s[22:23], s[24:25]
	s_cbranch_execz .LBB2_43
; %bb.42:
	v_bcnt_u32_b32 v0, v0, 0
	v_bcnt_u32_b32 v0, v1, v0
	s_waitcnt lgkmcnt(0)
	v_add_u32_e32 v0, v26, v0
	ds_write_b32 v27, v0 offset:8
.LBB2_43:
	s_or_b64 exec, exec, s[22:23]
	; wave barrier
	s_waitcnt lgkmcnt(0)
	s_barrier
	ds_read2_b64 v[0:3], v13 offset0:1 offset1:2
	s_waitcnt lgkmcnt(0)
	v_add_u32_e32 v11, v1, v0
	v_add3_u32 v3, v11, v2, v3
	s_nop 1
	v_mov_b32_dpp v11, v3 row_shr:1 row_mask:0xf bank_mask:0xf
	v_cndmask_b32_e64 v11, v11, 0, s[6:7]
	v_add_u32_e32 v3, v11, v3
	s_nop 1
	v_mov_b32_dpp v11, v3 row_shr:2 row_mask:0xf bank_mask:0xf
	v_cndmask_b32_e64 v11, 0, v11, s[8:9]
	v_add_u32_e32 v3, v3, v11
	;; [unrolled: 4-line block ×4, first 2 shown]
	s_nop 1
	v_mov_b32_dpp v11, v3 row_bcast:15 row_mask:0xf bank_mask:0xf
	v_cndmask_b32_e64 v11, v11, 0, s[2:3]
	v_add_u32_e32 v3, v3, v11
	s_nop 1
	v_mov_b32_dpp v11, v3 row_bcast:31 row_mask:0xf bank_mask:0xf
	v_cndmask_b32_e64 v11, 0, v11, s[18:19]
	v_add_u32_e32 v3, v3, v11
	s_and_saveexec_b64 s[22:23], vcc
; %bb.44:
	ds_write_b32 v14, v3
; %bb.45:
	s_or_b64 exec, exec, s[22:23]
	s_waitcnt lgkmcnt(0)
	s_barrier
	s_and_saveexec_b64 s[22:23], s[10:11]
	s_cbranch_execz .LBB2_47
; %bb.46:
	ds_read_b32 v11, v15
	s_waitcnt lgkmcnt(0)
	s_nop 0
	v_mov_b32_dpp v29, v11 row_shr:1 row_mask:0xf bank_mask:0xf
	v_cndmask_b32_e64 v29, v29, 0, s[4:5]
	v_add_u32_e32 v11, v29, v11
	ds_write_b32 v15, v11
.LBB2_47:
	s_or_b64 exec, exec, s[22:23]
	v_lshrrev_b32_e32 v29, 16, v9
	v_lshrrev_b32_e32 v30, 16, v10
	;; [unrolled: 1-line block ×4, first 2 shown]
	v_mov_b32_e32 v11, 0
	v_mov_b32_e32 v33, 0
	s_waitcnt lgkmcnt(0)
	s_barrier
	s_and_saveexec_b64 s[22:23], s[16:17]
; %bb.48:
	ds_read_b32 v33, v16
; %bb.49:
	s_or_b64 exec, exec, s[22:23]
	s_waitcnt lgkmcnt(0)
	v_add_u32_e32 v3, v33, v3
	ds_bpermute_b32 v3, v17, v3
	s_mov_b32 s22, 0x1000504
	v_perm_b32 v9, v9, v29, s22
	v_perm_b32 v29, v4, v31, s22
	v_perm_b32 v10, v10, v30, s22
	s_waitcnt lgkmcnt(0)
	v_cndmask_b32_e64 v3, v3, v33, s[0:1]
	v_cndmask_b32_e64 v3, v3, 0, s[20:21]
	v_add_u32_e32 v4, v3, v0
	v_add_u32_e32 v0, v4, v1
	;; [unrolled: 1-line block ×3, first 2 shown]
	ds_write2_b64 v13, v[3:4], v[0:1] offset0:1 offset1:2
	s_waitcnt lgkmcnt(0)
	s_barrier
	ds_read_b32 v0, v27 offset:8
	ds_read_b32 v1, v24 offset:8
	;; [unrolled: 1-line block ×4, first 2 shown]
	v_lshlrev_b32_e32 v4, 2, v12
	s_waitcnt lgkmcnt(0)
	s_barrier
	v_lshl_add_u32 v3, v3, 2, v4
	ds_write_b32 v3, v9
	v_lshlrev_b32_e32 v3, 2, v22
	v_lshlrev_b32_e32 v4, 2, v20
	;; [unrolled: 1-line block ×3, first 2 shown]
	v_add3_u32 v2, v3, v4, v2
	ds_write_b32 v2, v10
	v_lshlrev_b32_e32 v2, 2, v25
	v_lshlrev_b32_e32 v3, 2, v23
	;; [unrolled: 1-line block ×3, first 2 shown]
	v_add3_u32 v1, v2, v3, v1
	ds_write_b32 v1, v29
	v_lshlrev_b32_e32 v1, 2, v28
	v_lshlrev_b32_e32 v2, 2, v26
	;; [unrolled: 1-line block ×3, first 2 shown]
	v_perm_b32 v5, v5, v32, s22
	v_add3_u32 v0, v1, v2, v0
	s_mov_b32 s22, 0
	ds_write_b32 v0, v5
	s_waitcnt lgkmcnt(0)
	s_barrier
	ds_read2st64_b32 v[9:10], v18 offset1:1
	ds_read2st64_b32 v[4:5], v18 offset0:2 offset1:3
	s_mov_b32 s24, s22
	s_mov_b32 s23, s22
	;; [unrolled: 1-line block ×3, first 2 shown]
	v_mov_b32_e32 v0, s22
	v_mov_b32_e32 v2, s24
	;; [unrolled: 1-line block ×4, first 2 shown]
	s_waitcnt lgkmcnt(0)
	s_barrier
	ds_write2_b64 v13, v[0:1], v[2:3] offset0:1 offset1:2
	v_and_b32_e32 v0, 1, v9
	v_add_co_u32_e64 v1, s[22:23], -1, v0
	v_addc_co_u32_e64 v12, s[22:23], 0, -1, s[22:23]
	v_cmp_ne_u32_e64 s[22:23], 0, v0
	v_xor_b32_e32 v0, s23, v12
	v_lshlrev_b32_e32 v12, 30, v9
	v_xor_b32_e32 v1, s22, v1
	v_cmp_gt_i64_e64 s[22:23], 0, v[11:12]
	v_not_b32_e32 v12, v12
	v_ashrrev_i32_e32 v12, 31, v12
	v_and_b32_e32 v1, exec_lo, v1
	v_xor_b32_e32 v19, s23, v12
	v_xor_b32_e32 v12, s22, v12
	v_and_b32_e32 v1, v1, v12
	v_lshlrev_b32_e32 v12, 29, v9
	v_cmp_gt_i64_e64 s[22:23], 0, v[11:12]
	v_not_b32_e32 v12, v12
	v_and_b32_e32 v0, exec_hi, v0
	v_ashrrev_i32_e32 v12, 31, v12
	v_and_b32_e32 v0, v0, v19
	v_xor_b32_e32 v19, s23, v12
	v_xor_b32_e32 v12, s22, v12
	v_and_b32_e32 v1, v1, v12
	v_lshlrev_b32_e32 v12, 28, v9
	v_cmp_gt_i64_e64 s[22:23], 0, v[11:12]
	v_not_b32_e32 v12, v12
	v_ashrrev_i32_e32 v12, 31, v12
	v_and_b32_e32 v0, v0, v19
	v_xor_b32_e32 v19, s23, v12
	v_xor_b32_e32 v12, s22, v12
	v_and_b32_e32 v1, v1, v12
	v_lshlrev_b32_e32 v12, 27, v9
	v_cmp_gt_i64_e64 s[22:23], 0, v[11:12]
	v_not_b32_e32 v12, v12
	;; [unrolled: 8-line block ×4, first 2 shown]
	v_ashrrev_i32_e32 v12, 31, v12
	v_and_b32_e32 v0, v0, v19
	v_xor_b32_e32 v19, s23, v12
	v_xor_b32_e32 v12, s22, v12
	v_and_b32_e32 v0, v0, v19
	v_and_b32_e32 v19, v1, v12
	v_lshlrev_b32_e32 v12, 24, v9
	v_cmp_gt_i64_e64 s[22:23], 0, v[11:12]
	v_not_b32_e32 v1, v12
	v_ashrrev_i32_e32 v1, 31, v1
	v_xor_b32_e32 v11, s23, v1
	v_xor_b32_e32 v12, s22, v1
	v_and_b32_e32 v1, v0, v11
	v_and_b32_e32 v0, v19, v12
	v_mbcnt_lo_u32_b32 v11, v0, 0
	v_mov_b32_e32 v2, 3
	v_mbcnt_hi_u32_b32 v12, v1, v11
	v_cmp_ne_u64_e64 s[22:23], 0, v[0:1]
	v_lshlrev_b32_sdwa v3, v2, v9 dst_sel:DWORD dst_unused:UNUSED_PAD src0_sel:DWORD src1_sel:BYTE_0
	v_cmp_eq_u32_e64 s[24:25], 0, v12
	s_and_b64 s[24:25], s[24:25], s[22:23]
	v_add_u32_e32 v19, v6, v3
	s_waitcnt lgkmcnt(0)
	s_barrier
	; wave barrier
	s_and_saveexec_b64 s[22:23], s[24:25]
; %bb.50:
	v_bcnt_u32_b32 v0, v0, 0
	v_bcnt_u32_b32 v0, v1, v0
	ds_write_b32 v19, v0 offset:8
; %bb.51:
	s_or_b64 exec, exec, s[22:23]
	v_and_b32_e32 v1, 1, v10
	v_lshlrev_b32_sdwa v0, v2, v10 dst_sel:DWORD dst_unused:UNUSED_PAD src0_sel:DWORD src1_sel:BYTE_0
	v_add_co_u32_e64 v2, s[22:23], -1, v1
	v_addc_co_u32_e64 v3, s[22:23], 0, -1, s[22:23]
	v_cmp_ne_u32_e64 s[22:23], 0, v1
	v_xor_b32_e32 v1, s23, v3
	v_add_u32_e32 v21, v6, v0
	v_mov_b32_e32 v0, 0
	v_and_b32_e32 v3, exec_hi, v1
	v_lshlrev_b32_e32 v1, 30, v10
	v_xor_b32_e32 v2, s22, v2
	v_cmp_gt_i64_e64 s[22:23], 0, v[0:1]
	v_not_b32_e32 v1, v1
	v_ashrrev_i32_e32 v1, 31, v1
	v_and_b32_e32 v2, exec_lo, v2
	v_xor_b32_e32 v11, s23, v1
	v_xor_b32_e32 v1, s22, v1
	v_and_b32_e32 v2, v2, v1
	v_lshlrev_b32_e32 v1, 29, v10
	v_cmp_gt_i64_e64 s[22:23], 0, v[0:1]
	v_not_b32_e32 v1, v1
	v_ashrrev_i32_e32 v1, 31, v1
	v_and_b32_e32 v3, v3, v11
	v_xor_b32_e32 v11, s23, v1
	v_xor_b32_e32 v1, s22, v1
	v_and_b32_e32 v2, v2, v1
	v_lshlrev_b32_e32 v1, 28, v10
	v_cmp_gt_i64_e64 s[22:23], 0, v[0:1]
	v_not_b32_e32 v1, v1
	v_ashrrev_i32_e32 v1, 31, v1
	v_and_b32_e32 v3, v3, v11
	v_xor_b32_e32 v11, s23, v1
	v_xor_b32_e32 v1, s22, v1
	v_and_b32_e32 v2, v2, v1
	v_lshlrev_b32_e32 v1, 27, v10
	v_cmp_gt_i64_e64 s[22:23], 0, v[0:1]
	v_not_b32_e32 v1, v1
	v_ashrrev_i32_e32 v1, 31, v1
	v_and_b32_e32 v3, v3, v11
	v_xor_b32_e32 v11, s23, v1
	v_xor_b32_e32 v1, s22, v1
	v_and_b32_e32 v2, v2, v1
	v_lshlrev_b32_e32 v1, 26, v10
	v_cmp_gt_i64_e64 s[22:23], 0, v[0:1]
	v_not_b32_e32 v1, v1
	v_ashrrev_i32_e32 v1, 31, v1
	v_and_b32_e32 v3, v3, v11
	v_xor_b32_e32 v11, s23, v1
	v_xor_b32_e32 v1, s22, v1
	v_and_b32_e32 v2, v2, v1
	v_lshlrev_b32_e32 v1, 25, v10
	v_cmp_gt_i64_e64 s[22:23], 0, v[0:1]
	v_not_b32_e32 v1, v1
	v_ashrrev_i32_e32 v1, 31, v1
	v_and_b32_e32 v3, v3, v11
	v_xor_b32_e32 v11, s23, v1
	v_xor_b32_e32 v1, s22, v1
	v_and_b32_e32 v3, v3, v11
	v_and_b32_e32 v11, v2, v1
	v_lshlrev_b32_e32 v1, 24, v10
	v_cmp_gt_i64_e64 s[22:23], 0, v[0:1]
	v_not_b32_e32 v1, v1
	v_ashrrev_i32_e32 v1, 31, v1
	v_xor_b32_e32 v2, s23, v1
	v_xor_b32_e32 v1, s22, v1
	; wave barrier
	ds_read_b32 v20, v21 offset:8
	v_and_b32_e32 v1, v11, v1
	v_and_b32_e32 v2, v3, v2
	v_mbcnt_lo_u32_b32 v3, v1, 0
	v_mbcnt_hi_u32_b32 v22, v2, v3
	v_cmp_ne_u64_e64 s[22:23], 0, v[1:2]
	v_cmp_eq_u32_e64 s[24:25], 0, v22
	s_and_b64 s[24:25], s[24:25], s[22:23]
	; wave barrier
	s_and_saveexec_b64 s[22:23], s[24:25]
	s_cbranch_execz .LBB2_53
; %bb.52:
	v_bcnt_u32_b32 v1, v1, 0
	v_bcnt_u32_b32 v1, v2, v1
	s_waitcnt lgkmcnt(0)
	v_add_u32_e32 v1, v20, v1
	ds_write_b32 v21, v1 offset:8
.LBB2_53:
	s_or_b64 exec, exec, s[22:23]
	v_mov_b32_e32 v2, 3
	v_lshlrev_b32_sdwa v1, v2, v4 dst_sel:DWORD dst_unused:UNUSED_PAD src0_sel:DWORD src1_sel:BYTE_0
	v_add_u32_e32 v24, v6, v1
	v_and_b32_e32 v1, 1, v4
	v_add_co_u32_e64 v3, s[22:23], -1, v1
	v_addc_co_u32_e64 v11, s[22:23], 0, -1, s[22:23]
	v_cmp_ne_u32_e64 s[22:23], 0, v1
	v_xor_b32_e32 v1, s23, v11
	v_and_b32_e32 v11, exec_hi, v1
	v_lshlrev_b32_e32 v1, 30, v4
	v_xor_b32_e32 v3, s22, v3
	v_cmp_gt_i64_e64 s[22:23], 0, v[0:1]
	v_not_b32_e32 v1, v1
	v_ashrrev_i32_e32 v1, 31, v1
	v_and_b32_e32 v3, exec_lo, v3
	v_xor_b32_e32 v25, s23, v1
	v_xor_b32_e32 v1, s22, v1
	v_and_b32_e32 v3, v3, v1
	v_lshlrev_b32_e32 v1, 29, v4
	v_cmp_gt_i64_e64 s[22:23], 0, v[0:1]
	v_not_b32_e32 v1, v1
	v_ashrrev_i32_e32 v1, 31, v1
	v_and_b32_e32 v11, v11, v25
	v_xor_b32_e32 v25, s23, v1
	v_xor_b32_e32 v1, s22, v1
	v_and_b32_e32 v3, v3, v1
	v_lshlrev_b32_e32 v1, 28, v4
	v_cmp_gt_i64_e64 s[22:23], 0, v[0:1]
	v_not_b32_e32 v1, v1
	v_ashrrev_i32_e32 v1, 31, v1
	v_and_b32_e32 v11, v11, v25
	v_xor_b32_e32 v25, s23, v1
	v_xor_b32_e32 v1, s22, v1
	v_and_b32_e32 v3, v3, v1
	v_lshlrev_b32_e32 v1, 27, v4
	v_cmp_gt_i64_e64 s[22:23], 0, v[0:1]
	v_not_b32_e32 v1, v1
	v_ashrrev_i32_e32 v1, 31, v1
	v_and_b32_e32 v11, v11, v25
	v_xor_b32_e32 v25, s23, v1
	v_xor_b32_e32 v1, s22, v1
	v_and_b32_e32 v3, v3, v1
	v_lshlrev_b32_e32 v1, 26, v4
	v_cmp_gt_i64_e64 s[22:23], 0, v[0:1]
	v_not_b32_e32 v1, v1
	v_ashrrev_i32_e32 v1, 31, v1
	v_and_b32_e32 v11, v11, v25
	v_xor_b32_e32 v25, s23, v1
	v_xor_b32_e32 v1, s22, v1
	v_and_b32_e32 v3, v3, v1
	v_lshlrev_b32_e32 v1, 25, v4
	v_cmp_gt_i64_e64 s[22:23], 0, v[0:1]
	v_not_b32_e32 v1, v1
	v_ashrrev_i32_e32 v1, 31, v1
	v_and_b32_e32 v11, v11, v25
	v_xor_b32_e32 v25, s23, v1
	v_xor_b32_e32 v1, s22, v1
	v_and_b32_e32 v3, v3, v1
	v_lshlrev_b32_e32 v1, 24, v4
	v_cmp_gt_i64_e64 s[22:23], 0, v[0:1]
	v_not_b32_e32 v0, v1
	v_ashrrev_i32_e32 v0, 31, v0
	v_xor_b32_e32 v1, s23, v0
	v_xor_b32_e32 v0, s22, v0
	; wave barrier
	ds_read_b32 v23, v24 offset:8
	v_and_b32_e32 v11, v11, v25
	v_and_b32_e32 v0, v3, v0
	;; [unrolled: 1-line block ×3, first 2 shown]
	v_mbcnt_lo_u32_b32 v3, v0, 0
	v_mbcnt_hi_u32_b32 v25, v1, v3
	v_cmp_ne_u64_e64 s[22:23], 0, v[0:1]
	v_cmp_eq_u32_e64 s[24:25], 0, v25
	s_and_b64 s[24:25], s[24:25], s[22:23]
	; wave barrier
	s_and_saveexec_b64 s[22:23], s[24:25]
	s_cbranch_execz .LBB2_55
; %bb.54:
	v_bcnt_u32_b32 v0, v0, 0
	v_bcnt_u32_b32 v0, v1, v0
	s_waitcnt lgkmcnt(0)
	v_add_u32_e32 v0, v23, v0
	ds_write_b32 v24, v0 offset:8
.LBB2_55:
	s_or_b64 exec, exec, s[22:23]
	v_and_b32_e32 v1, 1, v5
	v_lshlrev_b32_sdwa v0, v2, v5 dst_sel:DWORD dst_unused:UNUSED_PAD src0_sel:DWORD src1_sel:BYTE_0
	v_add_co_u32_e64 v2, s[22:23], -1, v1
	v_addc_co_u32_e64 v3, s[22:23], 0, -1, s[22:23]
	v_cmp_ne_u32_e64 s[22:23], 0, v1
	v_xor_b32_e32 v1, s23, v3
	v_add_u32_e32 v27, v6, v0
	v_mov_b32_e32 v0, 0
	v_and_b32_e32 v3, exec_hi, v1
	v_lshlrev_b32_e32 v1, 30, v5
	v_xor_b32_e32 v2, s22, v2
	v_cmp_gt_i64_e64 s[22:23], 0, v[0:1]
	v_not_b32_e32 v1, v1
	v_ashrrev_i32_e32 v1, 31, v1
	v_and_b32_e32 v2, exec_lo, v2
	v_xor_b32_e32 v11, s23, v1
	v_xor_b32_e32 v1, s22, v1
	v_and_b32_e32 v2, v2, v1
	v_lshlrev_b32_e32 v1, 29, v5
	v_cmp_gt_i64_e64 s[22:23], 0, v[0:1]
	v_not_b32_e32 v1, v1
	v_ashrrev_i32_e32 v1, 31, v1
	v_and_b32_e32 v3, v3, v11
	v_xor_b32_e32 v11, s23, v1
	v_xor_b32_e32 v1, s22, v1
	v_and_b32_e32 v2, v2, v1
	v_lshlrev_b32_e32 v1, 28, v5
	v_cmp_gt_i64_e64 s[22:23], 0, v[0:1]
	v_not_b32_e32 v1, v1
	v_ashrrev_i32_e32 v1, 31, v1
	v_and_b32_e32 v3, v3, v11
	;; [unrolled: 8-line block ×5, first 2 shown]
	v_xor_b32_e32 v11, s23, v1
	v_xor_b32_e32 v1, s22, v1
	v_and_b32_e32 v2, v2, v1
	v_lshlrev_b32_e32 v1, 24, v5
	v_cmp_gt_i64_e64 s[22:23], 0, v[0:1]
	v_not_b32_e32 v0, v1
	v_ashrrev_i32_e32 v0, 31, v0
	v_xor_b32_e32 v1, s23, v0
	v_xor_b32_e32 v0, s22, v0
	; wave barrier
	ds_read_b32 v26, v27 offset:8
	v_and_b32_e32 v3, v3, v11
	v_and_b32_e32 v0, v2, v0
	;; [unrolled: 1-line block ×3, first 2 shown]
	v_mbcnt_lo_u32_b32 v2, v0, 0
	v_mbcnt_hi_u32_b32 v28, v1, v2
	v_cmp_ne_u64_e64 s[22:23], 0, v[0:1]
	v_cmp_eq_u32_e64 s[24:25], 0, v28
	s_and_b64 s[24:25], s[24:25], s[22:23]
	; wave barrier
	s_and_saveexec_b64 s[22:23], s[24:25]
	s_cbranch_execz .LBB2_57
; %bb.56:
	v_bcnt_u32_b32 v0, v0, 0
	v_bcnt_u32_b32 v0, v1, v0
	s_waitcnt lgkmcnt(0)
	v_add_u32_e32 v0, v26, v0
	ds_write_b32 v27, v0 offset:8
.LBB2_57:
	s_or_b64 exec, exec, s[22:23]
	; wave barrier
	s_waitcnt lgkmcnt(0)
	s_barrier
	ds_read2_b64 v[0:3], v13 offset0:1 offset1:2
	s_waitcnt lgkmcnt(0)
	v_add_u32_e32 v11, v1, v0
	v_add3_u32 v3, v11, v2, v3
	s_nop 1
	v_mov_b32_dpp v11, v3 row_shr:1 row_mask:0xf bank_mask:0xf
	v_cndmask_b32_e64 v11, v11, 0, s[6:7]
	v_add_u32_e32 v3, v11, v3
	s_nop 1
	v_mov_b32_dpp v11, v3 row_shr:2 row_mask:0xf bank_mask:0xf
	v_cndmask_b32_e64 v11, 0, v11, s[8:9]
	v_add_u32_e32 v3, v3, v11
	;; [unrolled: 4-line block ×4, first 2 shown]
	s_nop 1
	v_mov_b32_dpp v11, v3 row_bcast:15 row_mask:0xf bank_mask:0xf
	v_cndmask_b32_e64 v11, v11, 0, s[2:3]
	v_add_u32_e32 v3, v3, v11
	s_nop 1
	v_mov_b32_dpp v11, v3 row_bcast:31 row_mask:0xf bank_mask:0xf
	v_cndmask_b32_e64 v11, 0, v11, s[18:19]
	v_add_u32_e32 v3, v3, v11
	s_and_saveexec_b64 s[22:23], vcc
; %bb.58:
	ds_write_b32 v14, v3
; %bb.59:
	s_or_b64 exec, exec, s[22:23]
	s_waitcnt lgkmcnt(0)
	s_barrier
	s_and_saveexec_b64 s[22:23], s[10:11]
	s_cbranch_execz .LBB2_61
; %bb.60:
	ds_read_b32 v11, v15
	s_waitcnt lgkmcnt(0)
	s_nop 0
	v_mov_b32_dpp v29, v11 row_shr:1 row_mask:0xf bank_mask:0xf
	v_cndmask_b32_e64 v29, v29, 0, s[4:5]
	v_add_u32_e32 v11, v29, v11
	ds_write_b32 v15, v11
.LBB2_61:
	s_or_b64 exec, exec, s[22:23]
	v_mov_b32_e32 v11, 0
	v_mov_b32_e32 v29, 0
	s_waitcnt lgkmcnt(0)
	s_barrier
	s_and_saveexec_b64 s[22:23], s[16:17]
; %bb.62:
	ds_read_b32 v29, v16
; %bb.63:
	s_or_b64 exec, exec, s[22:23]
	s_waitcnt lgkmcnt(0)
	v_add_u32_e32 v3, v29, v3
	ds_bpermute_b32 v3, v17, v3
	v_and_b32_e32 v30, 0xffff0000, v9
	v_or_b32_sdwa v9, v30, v9 dst_sel:DWORD dst_unused:UNUSED_PAD src0_sel:DWORD src1_sel:WORD_0
	v_and_b32_e32 v30, 0xffff0000, v10
	v_or_b32_sdwa v10, v30, v10 dst_sel:DWORD dst_unused:UNUSED_PAD src0_sel:DWORD src1_sel:WORD_0
	v_and_b32_e32 v30, 0xffff0000, v4
	s_waitcnt lgkmcnt(0)
	v_cndmask_b32_e64 v3, v3, v29, s[0:1]
	v_or_b32_sdwa v30, v30, v4 dst_sel:DWORD dst_unused:UNUSED_PAD src0_sel:DWORD src1_sel:WORD_0
	v_and_b32_e32 v4, 0xffff0000, v5
	v_cndmask_b32_e64 v3, v3, 0, s[20:21]
	v_or_b32_sdwa v5, v4, v5 dst_sel:DWORD dst_unused:UNUSED_PAD src0_sel:DWORD src1_sel:WORD_0
	v_add_u32_e32 v4, v3, v0
	v_add_u32_e32 v0, v4, v1
	;; [unrolled: 1-line block ×3, first 2 shown]
	ds_write2_b64 v13, v[3:4], v[0:1] offset0:1 offset1:2
	s_waitcnt lgkmcnt(0)
	s_barrier
	ds_read_b32 v0, v19 offset:8
	ds_read_b32 v1, v21 offset:8
	;; [unrolled: 1-line block ×4, first 2 shown]
	v_lshlrev_b32_e32 v4, 2, v12
	s_waitcnt lgkmcnt(3)
	v_lshl_add_u32 v0, v0, 2, v4
	s_waitcnt lgkmcnt(0)
	s_barrier
	ds_write_b32 v0, v9
	v_lshlrev_b32_e32 v0, 2, v22
	v_lshlrev_b32_e32 v4, 2, v20
	v_lshlrev_b32_e32 v1, 2, v1
	v_add3_u32 v0, v0, v4, v1
	ds_write_b32 v0, v10
	v_lshlrev_b32_e32 v0, 2, v25
	v_lshlrev_b32_e32 v1, 2, v23
	;; [unrolled: 1-line block ×3, first 2 shown]
	v_add3_u32 v0, v0, v1, v2
	ds_write_b32 v0, v30
	v_lshlrev_b32_e32 v0, 2, v28
	v_lshlrev_b32_e32 v1, 2, v26
	;; [unrolled: 1-line block ×3, first 2 shown]
	s_mov_b32 s22, 0
	v_add3_u32 v0, v0, v1, v2
	ds_write_b32 v0, v5
	s_waitcnt lgkmcnt(0)
	s_barrier
	ds_read2st64_b32 v[9:10], v18 offset1:1
	ds_read2st64_b32 v[4:5], v18 offset0:2 offset1:3
	s_mov_b32 s24, s22
	s_mov_b32 s23, s22
	;; [unrolled: 1-line block ×3, first 2 shown]
	v_mov_b32_e32 v0, s22
	v_mov_b32_e32 v2, s24
	;; [unrolled: 1-line block ×4, first 2 shown]
	s_waitcnt lgkmcnt(0)
	s_barrier
	ds_write2_b64 v13, v[0:1], v[2:3] offset0:1 offset1:2
	v_mov_b32_e32 v0, 1
	v_and_b32_sdwa v0, v9, v0 dst_sel:DWORD dst_unused:UNUSED_PAD src0_sel:BYTE_1 src1_sel:DWORD
	v_add_co_u32_e64 v1, s[22:23], -1, v0
	v_addc_co_u32_e64 v2, s[22:23], 0, -1, s[22:23]
	v_cmp_ne_u32_e64 s[22:23], 0, v0
	v_xor_b32_e32 v0, s23, v2
	v_mov_b32_e32 v2, 30
	v_lshlrev_b32_sdwa v12, v2, v9 dst_sel:DWORD dst_unused:UNUSED_PAD src0_sel:DWORD src1_sel:BYTE_1
	v_xor_b32_e32 v1, s22, v1
	v_cmp_gt_i64_e64 s[22:23], 0, v[11:12]
	v_not_b32_e32 v3, v12
	v_ashrrev_i32_e32 v3, 31, v3
	v_and_b32_e32 v1, exec_lo, v1
	v_xor_b32_e32 v12, s23, v3
	v_xor_b32_e32 v3, s22, v3
	v_and_b32_e32 v0, exec_hi, v0
	v_and_b32_e32 v1, v1, v3
	v_mov_b32_e32 v3, 29
	v_and_b32_e32 v0, v0, v12
	v_lshlrev_b32_sdwa v12, v3, v9 dst_sel:DWORD dst_unused:UNUSED_PAD src0_sel:DWORD src1_sel:BYTE_1
	v_cmp_gt_i64_e64 s[22:23], 0, v[11:12]
	v_not_b32_e32 v12, v12
	v_ashrrev_i32_e32 v12, 31, v12
	v_xor_b32_e32 v20, s23, v12
	v_xor_b32_e32 v12, s22, v12
	v_mov_b32_e32 v21, 28
	v_and_b32_e32 v1, v1, v12
	v_lshlrev_b32_sdwa v12, v21, v9 dst_sel:DWORD dst_unused:UNUSED_PAD src0_sel:DWORD src1_sel:BYTE_1
	v_cmp_gt_i64_e64 s[22:23], 0, v[11:12]
	v_not_b32_e32 v12, v12
	v_ashrrev_i32_e32 v12, 31, v12
	v_and_b32_e32 v0, v0, v20
	v_xor_b32_e32 v20, s23, v12
	v_xor_b32_e32 v12, s22, v12
	v_mov_b32_e32 v22, 27
	v_and_b32_e32 v1, v1, v12
	v_lshlrev_b32_sdwa v12, v22, v9 dst_sel:DWORD dst_unused:UNUSED_PAD src0_sel:DWORD src1_sel:BYTE_1
	v_cmp_gt_i64_e64 s[22:23], 0, v[11:12]
	v_not_b32_e32 v12, v12
	v_ashrrev_i32_e32 v12, 31, v12
	v_and_b32_e32 v0, v0, v20
	;; [unrolled: 9-line block ×4, first 2 shown]
	v_xor_b32_e32 v20, s23, v12
	v_xor_b32_e32 v12, s22, v12
	v_mov_b32_e32 v25, 24
	v_and_b32_e32 v0, v0, v20
	v_and_b32_e32 v20, v1, v12
	v_lshlrev_b32_sdwa v12, v25, v9 dst_sel:DWORD dst_unused:UNUSED_PAD src0_sel:DWORD src1_sel:BYTE_1
	v_cmp_gt_i64_e64 s[22:23], 0, v[11:12]
	v_not_b32_e32 v1, v12
	v_ashrrev_i32_e32 v1, 31, v1
	v_xor_b32_e32 v11, s23, v1
	v_xor_b32_e32 v12, s22, v1
	v_and_b32_e32 v1, v0, v11
	v_and_b32_e32 v0, v20, v12
	v_mbcnt_lo_u32_b32 v11, v0, 0
	v_mov_b32_e32 v18, 3
	v_mbcnt_hi_u32_b32 v11, v1, v11
	v_cmp_ne_u64_e64 s[22:23], 0, v[0:1]
	v_lshlrev_b32_sdwa v19, v18, v9 dst_sel:DWORD dst_unused:UNUSED_PAD src0_sel:DWORD src1_sel:BYTE_1
	v_cmp_eq_u32_e64 s[24:25], 0, v11
	s_and_b64 s[24:25], s[24:25], s[22:23]
	v_add_u32_e32 v12, v6, v19
	s_waitcnt lgkmcnt(0)
	s_barrier
	; wave barrier
	s_and_saveexec_b64 s[22:23], s[24:25]
; %bb.64:
	v_bcnt_u32_b32 v0, v0, 0
	v_bcnt_u32_b32 v0, v1, v0
	ds_write_b32 v12, v0 offset:8
; %bb.65:
	s_or_b64 exec, exec, s[22:23]
	v_and_b32_e32 v20, 0xffff, v10
	v_bfe_u32 v1, v20, 8, 1
	v_add_co_u32_e64 v26, s[22:23], -1, v1
	v_addc_co_u32_e64 v27, s[22:23], 0, -1, s[22:23]
	v_cmp_ne_u32_e64 s[22:23], 0, v1
	v_lshlrev_b32_sdwa v0, v18, v10 dst_sel:DWORD dst_unused:UNUSED_PAD src0_sel:DWORD src1_sel:BYTE_1
	v_xor_b32_e32 v1, s23, v27
	v_add_u32_e32 v19, v6, v0
	v_mov_b32_e32 v0, 0
	v_and_b32_e32 v27, exec_hi, v1
	v_lshlrev_b32_sdwa v1, v2, v10 dst_sel:DWORD dst_unused:UNUSED_PAD src0_sel:DWORD src1_sel:BYTE_1
	v_xor_b32_e32 v26, s22, v26
	v_cmp_gt_i64_e64 s[22:23], 0, v[0:1]
	v_not_b32_e32 v1, v1
	v_ashrrev_i32_e32 v1, 31, v1
	v_and_b32_e32 v26, exec_lo, v26
	v_xor_b32_e32 v2, s23, v1
	v_xor_b32_e32 v1, s22, v1
	v_and_b32_e32 v26, v26, v1
	v_lshlrev_b32_sdwa v1, v3, v10 dst_sel:DWORD dst_unused:UNUSED_PAD src0_sel:DWORD src1_sel:BYTE_1
	v_cmp_gt_i64_e64 s[22:23], 0, v[0:1]
	v_not_b32_e32 v1, v1
	v_ashrrev_i32_e32 v1, 31, v1
	v_and_b32_e32 v2, v27, v2
	v_xor_b32_e32 v3, s23, v1
	v_xor_b32_e32 v1, s22, v1
	v_and_b32_e32 v2, v2, v3
	v_and_b32_e32 v3, v26, v1
	v_lshlrev_b32_sdwa v1, v21, v10 dst_sel:DWORD dst_unused:UNUSED_PAD src0_sel:DWORD src1_sel:BYTE_1
	v_cmp_gt_i64_e64 s[22:23], 0, v[0:1]
	v_not_b32_e32 v1, v1
	v_ashrrev_i32_e32 v1, 31, v1
	v_xor_b32_e32 v21, s23, v1
	v_xor_b32_e32 v1, s22, v1
	v_and_b32_e32 v3, v3, v1
	v_lshlrev_b32_sdwa v1, v22, v10 dst_sel:DWORD dst_unused:UNUSED_PAD src0_sel:DWORD src1_sel:BYTE_1
	v_cmp_gt_i64_e64 s[22:23], 0, v[0:1]
	v_not_b32_e32 v1, v1
	v_ashrrev_i32_e32 v1, 31, v1
	v_and_b32_e32 v2, v2, v21
	v_xor_b32_e32 v21, s23, v1
	v_xor_b32_e32 v1, s22, v1
	v_and_b32_e32 v3, v3, v1
	v_lshlrev_b32_sdwa v1, v23, v10 dst_sel:DWORD dst_unused:UNUSED_PAD src0_sel:DWORD src1_sel:BYTE_1
	v_cmp_gt_i64_e64 s[22:23], 0, v[0:1]
	v_not_b32_e32 v1, v1
	v_ashrrev_i32_e32 v1, 31, v1
	v_and_b32_e32 v2, v2, v21
	;; [unrolled: 8-line block ×4, first 2 shown]
	v_xor_b32_e32 v21, s23, v1
	v_xor_b32_e32 v1, s22, v1
	; wave barrier
	ds_read_b32 v18, v19 offset:8
	v_and_b32_e32 v1, v3, v1
	v_and_b32_e32 v2, v2, v21
	v_mbcnt_lo_u32_b32 v3, v1, 0
	v_mbcnt_hi_u32_b32 v21, v2, v3
	v_cmp_ne_u64_e64 s[22:23], 0, v[1:2]
	v_cmp_eq_u32_e64 s[24:25], 0, v21
	s_and_b64 s[24:25], s[24:25], s[22:23]
	; wave barrier
	s_and_saveexec_b64 s[22:23], s[24:25]
	s_cbranch_execz .LBB2_67
; %bb.66:
	v_bcnt_u32_b32 v1, v1, 0
	v_bcnt_u32_b32 v1, v2, v1
	s_waitcnt lgkmcnt(0)
	v_add_u32_e32 v1, v18, v1
	ds_write_b32 v19, v1 offset:8
.LBB2_67:
	s_or_b64 exec, exec, s[22:23]
	v_mov_b32_e32 v3, 3
	v_and_b32_e32 v24, 0xffff, v4
	v_lshlrev_b32_sdwa v1, v3, v4 dst_sel:DWORD dst_unused:UNUSED_PAD src0_sel:DWORD src1_sel:BYTE_1
	v_add_u32_e32 v23, v6, v1
	v_bfe_u32 v1, v24, 8, 1
	v_add_co_u32_e64 v2, s[22:23], -1, v1
	v_addc_co_u32_e64 v25, s[22:23], 0, -1, s[22:23]
	v_cmp_ne_u32_e64 s[22:23], 0, v1
	v_xor_b32_e32 v2, s22, v2
	v_xor_b32_e32 v1, s23, v25
	v_and_b32_e32 v26, exec_lo, v2
	v_mov_b32_e32 v2, 30
	v_and_b32_e32 v25, exec_hi, v1
	v_lshlrev_b32_sdwa v1, v2, v4 dst_sel:DWORD dst_unused:UNUSED_PAD src0_sel:DWORD src1_sel:BYTE_1
	v_cmp_gt_i64_e64 s[22:23], 0, v[0:1]
	v_not_b32_e32 v1, v1
	v_ashrrev_i32_e32 v1, 31, v1
	v_xor_b32_e32 v27, s23, v1
	v_xor_b32_e32 v1, s22, v1
	v_mov_b32_e32 v28, 29
	v_and_b32_e32 v26, v26, v1
	v_lshlrev_b32_sdwa v1, v28, v4 dst_sel:DWORD dst_unused:UNUSED_PAD src0_sel:DWORD src1_sel:BYTE_1
	v_cmp_gt_i64_e64 s[22:23], 0, v[0:1]
	v_not_b32_e32 v1, v1
	v_ashrrev_i32_e32 v1, 31, v1
	v_and_b32_e32 v25, v25, v27
	v_xor_b32_e32 v27, s23, v1
	v_xor_b32_e32 v1, s22, v1
	v_mov_b32_e32 v29, 28
	v_and_b32_e32 v26, v26, v1
	v_lshlrev_b32_sdwa v1, v29, v4 dst_sel:DWORD dst_unused:UNUSED_PAD src0_sel:DWORD src1_sel:BYTE_1
	v_cmp_gt_i64_e64 s[22:23], 0, v[0:1]
	v_not_b32_e32 v1, v1
	v_ashrrev_i32_e32 v1, 31, v1
	v_and_b32_e32 v25, v25, v27
	;; [unrolled: 9-line block ×5, first 2 shown]
	v_xor_b32_e32 v27, s23, v1
	v_xor_b32_e32 v1, s22, v1
	v_mov_b32_e32 v33, 24
	v_and_b32_e32 v26, v26, v1
	v_lshlrev_b32_sdwa v1, v33, v4 dst_sel:DWORD dst_unused:UNUSED_PAD src0_sel:DWORD src1_sel:BYTE_1
	v_cmp_gt_i64_e64 s[22:23], 0, v[0:1]
	v_not_b32_e32 v0, v1
	v_ashrrev_i32_e32 v0, 31, v0
	v_xor_b32_e32 v1, s23, v0
	v_xor_b32_e32 v0, s22, v0
	; wave barrier
	ds_read_b32 v22, v23 offset:8
	v_and_b32_e32 v25, v25, v27
	v_and_b32_e32 v0, v26, v0
	;; [unrolled: 1-line block ×3, first 2 shown]
	v_mbcnt_lo_u32_b32 v25, v0, 0
	v_mbcnt_hi_u32_b32 v25, v1, v25
	v_cmp_ne_u64_e64 s[22:23], 0, v[0:1]
	v_cmp_eq_u32_e64 s[24:25], 0, v25
	s_and_b64 s[24:25], s[24:25], s[22:23]
	; wave barrier
	s_and_saveexec_b64 s[22:23], s[24:25]
	s_cbranch_execz .LBB2_69
; %bb.68:
	v_bcnt_u32_b32 v0, v0, 0
	v_bcnt_u32_b32 v0, v1, v0
	s_waitcnt lgkmcnt(0)
	v_add_u32_e32 v0, v22, v0
	ds_write_b32 v23, v0 offset:8
.LBB2_69:
	s_or_b64 exec, exec, s[22:23]
	v_and_b32_e32 v27, 0xffff, v5
	v_bfe_u32 v1, v27, 8, 1
	v_lshlrev_b32_sdwa v0, v3, v5 dst_sel:DWORD dst_unused:UNUSED_PAD src0_sel:DWORD src1_sel:BYTE_1
	v_add_co_u32_e64 v3, s[22:23], -1, v1
	v_addc_co_u32_e64 v34, s[22:23], 0, -1, s[22:23]
	v_cmp_ne_u32_e64 s[22:23], 0, v1
	v_xor_b32_e32 v1, s23, v34
	v_add_u32_e32 v26, v6, v0
	v_mov_b32_e32 v0, 0
	v_and_b32_e32 v34, exec_hi, v1
	v_lshlrev_b32_sdwa v1, v2, v5 dst_sel:DWORD dst_unused:UNUSED_PAD src0_sel:DWORD src1_sel:BYTE_1
	v_xor_b32_e32 v3, s22, v3
	v_cmp_gt_i64_e64 s[22:23], 0, v[0:1]
	v_not_b32_e32 v1, v1
	v_ashrrev_i32_e32 v1, 31, v1
	v_and_b32_e32 v3, exec_lo, v3
	v_xor_b32_e32 v2, s23, v1
	v_xor_b32_e32 v1, s22, v1
	v_and_b32_e32 v3, v3, v1
	v_lshlrev_b32_sdwa v1, v28, v5 dst_sel:DWORD dst_unused:UNUSED_PAD src0_sel:DWORD src1_sel:BYTE_1
	v_cmp_gt_i64_e64 s[22:23], 0, v[0:1]
	v_not_b32_e32 v1, v1
	v_ashrrev_i32_e32 v1, 31, v1
	v_xor_b32_e32 v28, s23, v1
	v_xor_b32_e32 v1, s22, v1
	v_and_b32_e32 v3, v3, v1
	v_lshlrev_b32_sdwa v1, v29, v5 dst_sel:DWORD dst_unused:UNUSED_PAD src0_sel:DWORD src1_sel:BYTE_1
	v_cmp_gt_i64_e64 s[22:23], 0, v[0:1]
	v_not_b32_e32 v1, v1
	v_and_b32_e32 v2, v34, v2
	v_ashrrev_i32_e32 v1, 31, v1
	v_and_b32_e32 v2, v2, v28
	v_xor_b32_e32 v28, s23, v1
	v_xor_b32_e32 v1, s22, v1
	v_and_b32_e32 v3, v3, v1
	v_lshlrev_b32_sdwa v1, v30, v5 dst_sel:DWORD dst_unused:UNUSED_PAD src0_sel:DWORD src1_sel:BYTE_1
	v_cmp_gt_i64_e64 s[22:23], 0, v[0:1]
	v_not_b32_e32 v1, v1
	v_ashrrev_i32_e32 v1, 31, v1
	v_and_b32_e32 v2, v2, v28
	v_xor_b32_e32 v28, s23, v1
	v_xor_b32_e32 v1, s22, v1
	v_and_b32_e32 v3, v3, v1
	v_lshlrev_b32_sdwa v1, v31, v5 dst_sel:DWORD dst_unused:UNUSED_PAD src0_sel:DWORD src1_sel:BYTE_1
	v_cmp_gt_i64_e64 s[22:23], 0, v[0:1]
	v_not_b32_e32 v1, v1
	;; [unrolled: 8-line block ×4, first 2 shown]
	v_ashrrev_i32_e32 v0, 31, v0
	v_xor_b32_e32 v1, s23, v0
	v_xor_b32_e32 v0, s22, v0
	; wave barrier
	ds_read_b32 v6, v26 offset:8
	v_and_b32_e32 v2, v2, v28
	v_and_b32_e32 v0, v3, v0
	;; [unrolled: 1-line block ×3, first 2 shown]
	v_mbcnt_lo_u32_b32 v2, v0, 0
	v_mbcnt_hi_u32_b32 v28, v1, v2
	v_cmp_ne_u64_e64 s[22:23], 0, v[0:1]
	v_cmp_eq_u32_e64 s[24:25], 0, v28
	s_and_b64 s[24:25], s[24:25], s[22:23]
	; wave barrier
	s_and_saveexec_b64 s[22:23], s[24:25]
	s_cbranch_execz .LBB2_71
; %bb.70:
	v_bcnt_u32_b32 v0, v0, 0
	v_bcnt_u32_b32 v0, v1, v0
	s_waitcnt lgkmcnt(0)
	v_add_u32_e32 v0, v6, v0
	ds_write_b32 v26, v0 offset:8
.LBB2_71:
	s_or_b64 exec, exec, s[22:23]
	; wave barrier
	s_waitcnt lgkmcnt(0)
	s_barrier
	ds_read2_b64 v[0:3], v13 offset0:1 offset1:2
	s_waitcnt lgkmcnt(0)
	v_add_u32_e32 v29, v1, v0
	v_add3_u32 v3, v29, v2, v3
	s_nop 1
	v_mov_b32_dpp v29, v3 row_shr:1 row_mask:0xf bank_mask:0xf
	v_cndmask_b32_e64 v29, v29, 0, s[6:7]
	v_add_u32_e32 v3, v29, v3
	s_nop 1
	v_mov_b32_dpp v29, v3 row_shr:2 row_mask:0xf bank_mask:0xf
	v_cndmask_b32_e64 v29, 0, v29, s[8:9]
	v_add_u32_e32 v3, v3, v29
	;; [unrolled: 4-line block ×4, first 2 shown]
	s_nop 1
	v_mov_b32_dpp v29, v3 row_bcast:15 row_mask:0xf bank_mask:0xf
	v_cndmask_b32_e64 v29, v29, 0, s[2:3]
	v_add_u32_e32 v3, v3, v29
	s_nop 1
	v_mov_b32_dpp v29, v3 row_bcast:31 row_mask:0xf bank_mask:0xf
	v_cndmask_b32_e64 v29, 0, v29, s[18:19]
	v_add_u32_e32 v3, v3, v29
	s_and_saveexec_b64 s[2:3], vcc
; %bb.72:
	ds_write_b32 v14, v3
; %bb.73:
	s_or_b64 exec, exec, s[2:3]
	s_waitcnt lgkmcnt(0)
	s_barrier
	s_and_saveexec_b64 s[2:3], s[10:11]
	s_cbranch_execz .LBB2_75
; %bb.74:
	ds_read_b32 v14, v15
	s_waitcnt lgkmcnt(0)
	s_nop 0
	v_mov_b32_dpp v29, v14 row_shr:1 row_mask:0xf bank_mask:0xf
	v_cndmask_b32_e64 v29, v29, 0, s[4:5]
	v_add_u32_e32 v14, v29, v14
	ds_write_b32 v15, v14
.LBB2_75:
	s_or_b64 exec, exec, s[2:3]
	v_mov_b32_e32 v14, 0
	s_waitcnt lgkmcnt(0)
	s_barrier
	s_and_saveexec_b64 s[2:3], s[16:17]
; %bb.76:
	ds_read_b32 v14, v16
; %bb.77:
	s_or_b64 exec, exec, s[2:3]
	s_waitcnt lgkmcnt(0)
	v_add_u32_e32 v3, v14, v3
	ds_bpermute_b32 v3, v17, v3
	v_and_b32_e32 v15, 0xffff0000, v9
	v_and_b32_e32 v4, 0xffff0000, v4
	v_or_b32_sdwa v9, v15, v9 dst_sel:DWORD dst_unused:UNUSED_PAD src0_sel:DWORD src1_sel:WORD_0
	v_or_b32_e32 v15, v4, v24
	s_waitcnt lgkmcnt(0)
	v_cndmask_b32_e64 v3, v3, v14, s[0:1]
	v_and_b32_e32 v4, 0xffff0000, v5
	v_cndmask_b32_e64 v3, v3, 0, s[20:21]
	v_or_b32_e32 v5, v4, v27
	v_add_u32_e32 v4, v3, v0
	v_add_u32_e32 v0, v4, v1
	;; [unrolled: 1-line block ×3, first 2 shown]
	ds_write2_b64 v13, v[3:4], v[0:1] offset0:1 offset1:2
	s_waitcnt lgkmcnt(0)
	s_barrier
	ds_read_b32 v0, v26 offset:8
	ds_read_b32 v1, v12 offset:8
	;; [unrolled: 1-line block ×4, first 2 shown]
	v_lshlrev_b32_e32 v4, 2, v11
	v_and_b32_e32 v10, 0xffff0000, v10
	s_waitcnt lgkmcnt(2)
	v_lshl_add_u32 v1, v1, 2, v4
	s_waitcnt lgkmcnt(0)
	s_barrier
	ds_write_b32 v1, v9
	v_lshlrev_b32_e32 v1, 2, v21
	v_lshlrev_b32_e32 v4, 2, v18
	;; [unrolled: 1-line block ×3, first 2 shown]
	v_or_b32_e32 v10, v10, v20
	v_add3_u32 v1, v1, v4, v3
	ds_write_b32 v1, v10
	v_lshlrev_b32_e32 v1, 2, v25
	v_lshlrev_b32_e32 v3, 2, v22
	;; [unrolled: 1-line block ×3, first 2 shown]
	v_add3_u32 v1, v1, v3, v2
	ds_write_b32 v1, v15
	v_lshlrev_b32_e32 v1, 2, v28
	v_lshlrev_b32_e32 v2, 2, v6
	;; [unrolled: 1-line block ×3, first 2 shown]
	v_add3_u32 v0, v1, v2, v0
	ds_write_b32 v0, v5
	s_waitcnt lgkmcnt(0)
	s_barrier
.LBB2_78:
	ds_read2_b64 v[0:3], v13 offset1:1
	s_waitcnt lgkmcnt(0)
	v_xor_b32_e32 v0, 0x80008000, v0
	v_xor_b32_e32 v1, 0x80008000, v1
	;; [unrolled: 1-line block ×4, first 2 shown]
	global_store_dwordx4 v[7:8], v[0:3], off
	s_endpgm
	.section	.rodata,"a",@progbits
	.p2align	6, 0x0
	.amdhsa_kernel _Z15sort_key_kernelILj128ELj4ELb0ELb0EN10test_utils16custom_test_typeIsEEEvPT3_jj
		.amdhsa_group_segment_fixed_size 2064
		.amdhsa_private_segment_fixed_size 0
		.amdhsa_kernarg_size 272
		.amdhsa_user_sgpr_count 6
		.amdhsa_user_sgpr_private_segment_buffer 1
		.amdhsa_user_sgpr_dispatch_ptr 0
		.amdhsa_user_sgpr_queue_ptr 0
		.amdhsa_user_sgpr_kernarg_segment_ptr 1
		.amdhsa_user_sgpr_dispatch_id 0
		.amdhsa_user_sgpr_flat_scratch_init 0
		.amdhsa_user_sgpr_private_segment_size 0
		.amdhsa_uses_dynamic_stack 0
		.amdhsa_system_sgpr_private_segment_wavefront_offset 0
		.amdhsa_system_sgpr_workgroup_id_x 1
		.amdhsa_system_sgpr_workgroup_id_y 0
		.amdhsa_system_sgpr_workgroup_id_z 0
		.amdhsa_system_sgpr_workgroup_info 0
		.amdhsa_system_vgpr_workitem_id 2
		.amdhsa_next_free_vgpr 50
		.amdhsa_next_free_sgpr 61
		.amdhsa_reserve_vcc 1
		.amdhsa_reserve_flat_scratch 0
		.amdhsa_float_round_mode_32 0
		.amdhsa_float_round_mode_16_64 0
		.amdhsa_float_denorm_mode_32 3
		.amdhsa_float_denorm_mode_16_64 3
		.amdhsa_dx10_clamp 1
		.amdhsa_ieee_mode 1
		.amdhsa_fp16_overflow 0
		.amdhsa_exception_fp_ieee_invalid_op 0
		.amdhsa_exception_fp_denorm_src 0
		.amdhsa_exception_fp_ieee_div_zero 0
		.amdhsa_exception_fp_ieee_overflow 0
		.amdhsa_exception_fp_ieee_underflow 0
		.amdhsa_exception_fp_ieee_inexact 0
		.amdhsa_exception_int_div_zero 0
	.end_amdhsa_kernel
	.section	.text._Z15sort_key_kernelILj128ELj4ELb0ELb0EN10test_utils16custom_test_typeIsEEEvPT3_jj,"axG",@progbits,_Z15sort_key_kernelILj128ELj4ELb0ELb0EN10test_utils16custom_test_typeIsEEEvPT3_jj,comdat
.Lfunc_end2:
	.size	_Z15sort_key_kernelILj128ELj4ELb0ELb0EN10test_utils16custom_test_typeIsEEEvPT3_jj, .Lfunc_end2-_Z15sort_key_kernelILj128ELj4ELb0ELb0EN10test_utils16custom_test_typeIsEEEvPT3_jj
                                        ; -- End function
	.set _Z15sort_key_kernelILj128ELj4ELb0ELb0EN10test_utils16custom_test_typeIsEEEvPT3_jj.num_vgpr, 50
	.set _Z15sort_key_kernelILj128ELj4ELb0ELb0EN10test_utils16custom_test_typeIsEEEvPT3_jj.num_agpr, 0
	.set _Z15sort_key_kernelILj128ELj4ELb0ELb0EN10test_utils16custom_test_typeIsEEEvPT3_jj.numbered_sgpr, 55
	.set _Z15sort_key_kernelILj128ELj4ELb0ELb0EN10test_utils16custom_test_typeIsEEEvPT3_jj.num_named_barrier, 0
	.set _Z15sort_key_kernelILj128ELj4ELb0ELb0EN10test_utils16custom_test_typeIsEEEvPT3_jj.private_seg_size, 0
	.set _Z15sort_key_kernelILj128ELj4ELb0ELb0EN10test_utils16custom_test_typeIsEEEvPT3_jj.uses_vcc, 1
	.set _Z15sort_key_kernelILj128ELj4ELb0ELb0EN10test_utils16custom_test_typeIsEEEvPT3_jj.uses_flat_scratch, 0
	.set _Z15sort_key_kernelILj128ELj4ELb0ELb0EN10test_utils16custom_test_typeIsEEEvPT3_jj.has_dyn_sized_stack, 0
	.set _Z15sort_key_kernelILj128ELj4ELb0ELb0EN10test_utils16custom_test_typeIsEEEvPT3_jj.has_recursion, 0
	.set _Z15sort_key_kernelILj128ELj4ELb0ELb0EN10test_utils16custom_test_typeIsEEEvPT3_jj.has_indirect_call, 0
	.section	.AMDGPU.csdata,"",@progbits
; Kernel info:
; codeLenInByte = 12956
; TotalNumSgprs: 59
; NumVgprs: 50
; ScratchSize: 0
; MemoryBound: 0
; FloatMode: 240
; IeeeMode: 1
; LDSByteSize: 2064 bytes/workgroup (compile time only)
; SGPRBlocks: 8
; VGPRBlocks: 12
; NumSGPRsForWavesPerEU: 65
; NumVGPRsForWavesPerEU: 50
; Occupancy: 4
; WaveLimiterHint : 0
; COMPUTE_PGM_RSRC2:SCRATCH_EN: 0
; COMPUTE_PGM_RSRC2:USER_SGPR: 6
; COMPUTE_PGM_RSRC2:TRAP_HANDLER: 0
; COMPUTE_PGM_RSRC2:TGID_X_EN: 1
; COMPUTE_PGM_RSRC2:TGID_Y_EN: 0
; COMPUTE_PGM_RSRC2:TGID_Z_EN: 0
; COMPUTE_PGM_RSRC2:TIDIG_COMP_CNT: 2
	.section	.text._Z15sort_key_kernelILj60ELj1ELb0ELb1EtEvPT3_jj,"axG",@progbits,_Z15sort_key_kernelILj60ELj1ELb0ELb1EtEvPT3_jj,comdat
	.protected	_Z15sort_key_kernelILj60ELj1ELb0ELb1EtEvPT3_jj ; -- Begin function _Z15sort_key_kernelILj60ELj1ELb0ELb1EtEvPT3_jj
	.globl	_Z15sort_key_kernelILj60ELj1ELb0ELb1EtEvPT3_jj
	.p2align	8
	.type	_Z15sort_key_kernelILj60ELj1ELb0ELb1EtEvPT3_jj,@function
_Z15sort_key_kernelILj60ELj1ELb0ELb1EtEvPT3_jj: ; @_Z15sort_key_kernelILj60ELj1ELb0ELb1EtEvPT3_jj
; %bb.0:
	s_load_dwordx4 s[36:39], s[4:5], 0x0
	s_mul_i32 s0, s6, 60
	s_mov_b32 s1, 0
	s_lshl_b64 s[0:1], s[0:1], 1
	v_lshlrev_b32_e32 v16, 1, v0
	s_waitcnt lgkmcnt(0)
	s_add_u32 s20, s36, s0
	s_addc_u32 s21, s37, s1
	global_load_ushort v1, v16, s[20:21]
	v_mbcnt_lo_u32_b32 v2, -1, 0
	s_movk_i32 s0, 0x1e0
	v_mbcnt_hi_u32_b32 v2, -1, v2
	v_cmp_gt_u32_e64 s[16:17], s0, v0
	v_subrev_co_u32_e64 v5, s[0:1], 1, v2
	v_and_b32_e32 v6, 64, v2
	v_cmp_lt_i32_e32 vcc, v5, v6
	v_and_b32_e32 v3, 15, v2
	v_and_b32_e32 v4, 16, v2
	v_cmp_lt_u32_e64 s[4:5], 31, v2
	v_cndmask_b32_e32 v2, v5, v2, vcc
	s_cmp_eq_u32 s38, 0
	v_lshlrev_b32_e32 v13, 2, v2
	v_mov_b32_e32 v2, s21
	v_add_co_u32_e32 v9, vcc, s20, v16
	s_cselect_b64 s[20:21], -1, 0
	s_cmp_eq_u32 s39, 16
	s_cselect_b64 s[22:23], -1, 0
	s_movk_i32 s6, 0xffe2
	v_lshlrev_b32_e32 v12, 5, v0
	v_addc_co_u32_e32 v10, vcc, 0, v2, vcc
	s_and_b64 s[20:21], s[20:21], s[22:23]
	v_mov_b32_e32 v17, 0
	s_mov_b64 s[18:19], -1
	v_cmp_eq_u32_e64 s[2:3], 59, v0
	v_lshlrev_b32_e32 v14, 2, v0
	v_mad_i32_i24 v11, v0, s6, v12
	v_cmp_eq_u32_e64 s[14:15], 0, v3
	v_cmp_lt_u32_e64 s[12:13], 1, v3
	v_cmp_lt_u32_e64 s[10:11], 3, v3
	;; [unrolled: 1-line block ×3, first 2 shown]
	v_cmp_eq_u32_e64 s[6:7], 0, v4
	s_and_b64 vcc, exec, s[20:21]
	s_waitcnt vmcnt(0)
	v_xor_b32_e32 v15, -1, v1
	s_cbranch_vccnz .LBB3_17
; %bb.1:
	s_movk_i32 s18, 0x1a4
	s_movk_i32 s20, 0x168
	;; [unrolled: 1-line block ×6, first 2 shown]
	v_cmp_gt_u32_e64 s[18:19], s18, v0
	v_cmp_gt_u32_e64 s[20:21], s20, v0
	v_cmp_gt_u32_e64 s[22:23], s22, v0
	v_cmp_gt_u32_e64 s[24:25], s24, v0
	v_cmp_gt_u32_e64 s[26:27], s26, v0
	v_cmp_gt_u32_e64 s[28:29], s28, v0
	v_cmp_gt_u32_e64 s[30:31], 60, v0
	s_sub_i32 s33, s39, s38
	v_mov_b32_e32 v18, 1
	v_mov_b32_e32 v2, v15
	s_branch .LBB3_3
.LBB3_2:                                ;   in Loop: Header=BB3_3 Depth=1
	s_andn2_b64 vcc, exec, s[34:35]
	s_cbranch_vccz .LBB3_16
.LBB3_3:                                ; =>This Inner Loop Header: Depth=1
	v_mov_b32_e32 v19, v2
	s_and_saveexec_b64 s[34:35], s[16:17]
	s_cbranch_execz .LBB3_12
; %bb.4:                                ;   in Loop: Header=BB3_3 Depth=1
	ds_write_b32 v14, v17
	s_and_b64 exec, exec, s[18:19]
	s_cbranch_execz .LBB3_12
; %bb.5:                                ;   in Loop: Header=BB3_3 Depth=1
	ds_write_b32 v14, v17 offset:240
	s_and_b64 exec, exec, s[20:21]
	s_cbranch_execz .LBB3_12
; %bb.6:                                ;   in Loop: Header=BB3_3 Depth=1
	ds_write_b32 v14, v17 offset:480
	;; [unrolled: 4-line block ×5, first 2 shown]
	s_and_b64 exec, exec, s[28:29]
	s_cbranch_execz .LBB3_12
; %bb.10:                               ;   in Loop: Header=BB3_3 Depth=1
	ds_write_b32 v14, v17 offset:1440
	s_and_b64 exec, exec, s[30:31]
; %bb.11:                               ;   in Loop: Header=BB3_3 Depth=1
	ds_write_b32 v14, v17 offset:1680
.LBB3_12:                               ;   in Loop: Header=BB3_3 Depth=1
	s_or_b64 exec, exec, s[34:35]
	s_min_u32 s34, s33, 4
	v_lshrrev_b32_sdwa v1, s38, v19 dst_sel:DWORD dst_unused:UNUSED_PAD src0_sel:DWORD src1_sel:WORD_0
	v_bfe_u32 v1, v1, 0, s34
	v_and_b32_e32 v2, 7, v1
	v_lshrrev_b32_e32 v1, 2, v1
	v_mad_u32_u24 v2, v2, 60, v0
	v_and_b32_e32 v1, 30, v1
	v_lshl_add_u32 v21, v2, 2, v1
	ds_read_u16 v20, v21
	s_waitcnt lgkmcnt(0)
	v_add_u16_e32 v1, 1, v20
	ds_write_b16 v21, v1
	s_waitcnt lgkmcnt(0)
	; wave barrier
	ds_read2_b64 v[5:8], v12 offset1:1
	ds_read2_b64 v[1:4], v12 offset0:2 offset1:3
	s_waitcnt lgkmcnt(1)
	v_add_u32_e32 v22, v6, v5
	v_add3_u32 v22, v22, v7, v8
	s_waitcnt lgkmcnt(0)
	v_add3_u32 v22, v22, v1, v2
	v_add3_u32 v4, v22, v3, v4
	s_nop 1
	v_mov_b32_dpp v22, v4 row_shr:1 row_mask:0xf bank_mask:0xf
	v_cndmask_b32_e64 v22, v22, 0, s[14:15]
	v_add_u32_e32 v4, v22, v4
	s_nop 1
	v_mov_b32_dpp v22, v4 row_shr:2 row_mask:0xf bank_mask:0xf
	v_cndmask_b32_e64 v22, 0, v22, s[12:13]
	v_add_u32_e32 v4, v4, v22
	;; [unrolled: 4-line block ×4, first 2 shown]
	s_nop 1
	v_mov_b32_dpp v22, v4 row_bcast:15 row_mask:0xf bank_mask:0xf
	v_cndmask_b32_e64 v22, v22, 0, s[6:7]
	v_add_u32_e32 v4, v4, v22
	s_nop 1
	v_mov_b32_dpp v22, v4 row_bcast:31 row_mask:0xf bank_mask:0xf
	v_cndmask_b32_e64 v22, 0, v22, s[4:5]
	v_add_u32_e32 v4, v4, v22
	s_and_saveexec_b64 s[34:35], s[2:3]
; %bb.13:                               ;   in Loop: Header=BB3_3 Depth=1
	ds_write_b32 v17, v4 offset:1920
; %bb.14:                               ;   in Loop: Header=BB3_3 Depth=1
	s_or_b64 exec, exec, s[34:35]
	ds_bpermute_b32 v4, v13, v4
	s_waitcnt lgkmcnt(0)
	; wave barrier
	ds_read_b32 v22, v17 offset:1920
	s_add_i32 s38, s38, 4
	v_cndmask_b32_e64 v4, v4, 0, s[0:1]
	s_cmp_ge_u32 s38, s39
	s_mov_b64 s[34:35], -1
	s_waitcnt lgkmcnt(0)
	v_lshl_add_u32 v4, v22, 16, v4
	v_add_u32_e32 v5, v4, v5
	v_add_u32_e32 v6, v5, v6
	;; [unrolled: 1-line block ×7, first 2 shown]
	ds_write2_b64 v12, v[4:5], v[6:7] offset1:1
	ds_write2_b64 v12, v[22:23], v[1:2] offset0:2 offset1:3
	s_waitcnt lgkmcnt(0)
	; wave barrier
	ds_read_u16 v1, v21
	v_lshlrev_b32_sdwa v2, v18, v20 dst_sel:DWORD dst_unused:UNUSED_PAD src0_sel:DWORD src1_sel:WORD_0
	s_waitcnt lgkmcnt(0)
	v_lshl_add_u32 v1, v1, 1, v2
                                        ; implicit-def: $vgpr2
	s_cbranch_scc1 .LBB3_2
; %bb.15:                               ;   in Loop: Header=BB3_3 Depth=1
	; wave barrier
	ds_write_b16 v1, v19
	s_waitcnt lgkmcnt(0)
	; wave barrier
	ds_read_u16 v2, v11
	s_add_i32 s33, s33, -4
	s_mov_b64 s[34:35], 0
	s_waitcnt lgkmcnt(0)
	; wave barrier
	s_branch .LBB3_2
.LBB3_16:
	s_mov_b64 s[18:19], 0
	; wave barrier
	ds_write_b16 v1, v19
	s_waitcnt lgkmcnt(0)
	; wave barrier
.LBB3_17:
	s_and_b64 vcc, exec, s[18:19]
	s_cbranch_vccz .LBB3_60
; %bb.18:
	s_and_saveexec_b64 s[18:19], s[16:17]
	s_cbranch_execz .LBB3_27
; %bb.19:
	s_movk_i32 s16, 0x1a4
	v_add_u32_e32 v1, v11, v16
	v_mov_b32_e32 v2, 0
	v_cmp_gt_u32_e32 vcc, s16, v0
	ds_write_b32 v1, v2
	s_and_b64 exec, exec, vcc
	s_cbranch_execz .LBB3_27
; %bb.20:
	s_movk_i32 s16, 0x168
	v_cmp_gt_u32_e32 vcc, s16, v0
	ds_write_b32 v1, v2 offset:240
	s_and_b64 exec, exec, vcc
	s_cbranch_execz .LBB3_27
; %bb.21:
	s_movk_i32 s16, 0x12c
	v_mov_b32_e32 v2, 0
	v_cmp_gt_u32_e32 vcc, s16, v0
	ds_write_b32 v1, v2 offset:480
	s_and_b64 exec, exec, vcc
	s_cbranch_execz .LBB3_27
; %bb.22:
	s_movk_i32 s16, 0xf0
	v_cmp_gt_u32_e32 vcc, s16, v0
	ds_write_b32 v1, v2 offset:720
	s_and_b64 exec, exec, vcc
	s_cbranch_execz .LBB3_27
; %bb.23:
	s_movk_i32 s16, 0xb4
	v_mov_b32_e32 v2, 0
	v_cmp_gt_u32_e32 vcc, s16, v0
	ds_write_b32 v1, v2 offset:960
	s_and_b64 exec, exec, vcc
	s_cbranch_execz .LBB3_27
; %bb.24:
	s_movk_i32 s16, 0x78
	v_cmp_gt_u32_e32 vcc, s16, v0
	ds_write_b32 v1, v2 offset:1200
	s_and_b64 exec, exec, vcc
	s_cbranch_execz .LBB3_27
; %bb.25:
	v_mov_b32_e32 v2, 0
	v_cmp_gt_u32_e32 vcc, 60, v0
	ds_write_b32 v1, v2 offset:1440
	s_and_b64 exec, exec, vcc
; %bb.26:
	ds_write_b32 v1, v2 offset:1680
.LBB3_27:
	s_or_b64 exec, exec, s[18:19]
	v_and_b32_e32 v1, 15, v15
	v_mov_b32_e32 v2, 7
	v_mov_b32_e32 v3, 2
	v_and_b32_sdwa v2, v1, v2 dst_sel:DWORD dst_unused:UNUSED_PAD src0_sel:WORD_0 src1_sel:DWORD
	v_lshrrev_b32_sdwa v1, v3, v1 dst_sel:DWORD dst_unused:UNUSED_PAD src0_sel:DWORD src1_sel:WORD_0
	v_mad_u32_u24 v2, v2, 60, v0
	v_and_b32_e32 v1, 2, v1
	v_lshl_or_b32 v17, v2, 2, v1
	ds_read_u16 v16, v17
	s_waitcnt lgkmcnt(0)
	v_add_u16_e32 v1, 1, v16
	ds_write_b16 v17, v1
	s_waitcnt lgkmcnt(0)
	; wave barrier
	ds_read2_b64 v[5:8], v12 offset1:1
	ds_read2_b64 v[1:4], v12 offset0:2 offset1:3
	s_waitcnt lgkmcnt(1)
	v_add_u32_e32 v18, v6, v5
	v_add3_u32 v18, v18, v7, v8
	s_waitcnt lgkmcnt(0)
	v_add3_u32 v18, v18, v1, v2
	v_add3_u32 v4, v18, v3, v4
	s_nop 1
	v_mov_b32_dpp v18, v4 row_shr:1 row_mask:0xf bank_mask:0xf
	v_cndmask_b32_e64 v18, v18, 0, s[14:15]
	v_add_u32_e32 v4, v18, v4
	s_nop 1
	v_mov_b32_dpp v18, v4 row_shr:2 row_mask:0xf bank_mask:0xf
	v_cndmask_b32_e64 v18, 0, v18, s[12:13]
	v_add_u32_e32 v4, v4, v18
	;; [unrolled: 4-line block ×4, first 2 shown]
	s_nop 1
	v_mov_b32_dpp v18, v4 row_bcast:15 row_mask:0xf bank_mask:0xf
	v_cndmask_b32_e64 v18, v18, 0, s[6:7]
	v_add_u32_e32 v4, v4, v18
	s_nop 1
	v_mov_b32_dpp v18, v4 row_bcast:31 row_mask:0xf bank_mask:0xf
	v_cndmask_b32_e64 v18, 0, v18, s[4:5]
	v_add_u32_e32 v4, v4, v18
	s_and_saveexec_b64 s[16:17], s[2:3]
; %bb.28:
	v_mov_b32_e32 v18, 0
	ds_write_b32 v18, v4 offset:1920
; %bb.29:
	s_or_b64 exec, exec, s[16:17]
	ds_bpermute_b32 v18, v13, v4
	v_mov_b32_e32 v4, 0
	s_waitcnt lgkmcnt(0)
	; wave barrier
	ds_read_b32 v19, v4 offset:1920
	v_cndmask_b32_e64 v18, v18, 0, s[0:1]
	s_movk_i32 s16, 0x1a4
	v_cmp_gt_u32_e32 vcc, s16, v0
	s_waitcnt lgkmcnt(0)
	v_lshl_add_u32 v18, v19, 16, v18
	v_add_u32_e32 v19, v18, v5
	v_add_u32_e32 v5, v19, v6
	;; [unrolled: 1-line block ×7, first 2 shown]
	ds_write2_b64 v12, v[18:19], v[5:6] offset1:1
	ds_write2_b64 v12, v[7:8], v[1:2] offset0:2 offset1:3
	s_waitcnt lgkmcnt(0)
	; wave barrier
	ds_read_u16 v1, v17
	v_mov_b32_e32 v2, 1
	v_lshlrev_b32_sdwa v2, v2, v16 dst_sel:DWORD dst_unused:UNUSED_PAD src0_sel:DWORD src1_sel:WORD_0
	s_waitcnt lgkmcnt(0)
	; wave barrier
	v_lshl_add_u32 v1, v1, 1, v2
	ds_write_b16 v1, v15
	s_waitcnt lgkmcnt(0)
	; wave barrier
	ds_read_u16 v15, v11
	s_waitcnt lgkmcnt(0)
	; wave barrier
	ds_write_b32 v14, v4
	s_and_saveexec_b64 s[18:19], vcc
	s_cbranch_execz .LBB3_37
; %bb.30:
	s_movk_i32 s16, 0x168
	v_cmp_gt_u32_e64 s[16:17], s16, v0
	ds_write_b32 v14, v4 offset:240
	s_and_b64 exec, exec, s[16:17]
	s_cbranch_execz .LBB3_37
; %bb.31:
	s_movk_i32 s16, 0x12c
	v_mov_b32_e32 v1, 0
	v_cmp_gt_u32_e64 s[16:17], s16, v0
	ds_write_b32 v14, v1 offset:480
	s_and_b64 exec, exec, s[16:17]
	s_cbranch_execz .LBB3_37
; %bb.32:
	s_movk_i32 s16, 0xf0
	v_cmp_gt_u32_e64 s[16:17], s16, v0
	ds_write_b32 v14, v1 offset:720
	s_and_b64 exec, exec, s[16:17]
	s_cbranch_execz .LBB3_37
; %bb.33:
	s_movk_i32 s16, 0xb4
	v_mov_b32_e32 v1, 0
	v_cmp_gt_u32_e64 s[16:17], s16, v0
	ds_write_b32 v14, v1 offset:960
	s_and_b64 exec, exec, s[16:17]
	s_cbranch_execz .LBB3_37
; %bb.34:
	s_movk_i32 s16, 0x78
	v_cmp_gt_u32_e64 s[16:17], s16, v0
	ds_write_b32 v14, v1 offset:1200
	s_and_b64 exec, exec, s[16:17]
	s_cbranch_execz .LBB3_37
; %bb.35:
	v_mov_b32_e32 v1, 0
	v_cmp_gt_u32_e64 s[16:17], 60, v0
	ds_write_b32 v14, v1 offset:1440
	s_and_b64 exec, exec, s[16:17]
; %bb.36:
	ds_write_b32 v14, v1 offset:1680
.LBB3_37:
	s_or_b64 exec, exec, s[18:19]
	v_lshrrev_b16_e32 v1, 4, v15
	v_and_b32_e32 v1, 15, v1
	v_mov_b32_e32 v2, 7
	v_mov_b32_e32 v3, 2
	v_and_b32_sdwa v2, v1, v2 dst_sel:DWORD dst_unused:UNUSED_PAD src0_sel:WORD_0 src1_sel:DWORD
	v_lshrrev_b32_sdwa v1, v3, v1 dst_sel:DWORD dst_unused:UNUSED_PAD src0_sel:DWORD src1_sel:WORD_0
	v_mad_u32_u24 v2, v2, 60, v0
	v_and_b32_e32 v1, 2, v1
	v_lshl_or_b32 v17, v2, 2, v1
	ds_read_u16 v16, v17
	s_waitcnt lgkmcnt(0)
	v_add_u16_e32 v1, 1, v16
	ds_write_b16 v17, v1
	s_waitcnt lgkmcnt(0)
	; wave barrier
	ds_read2_b64 v[5:8], v12 offset1:1
	ds_read2_b64 v[1:4], v12 offset0:2 offset1:3
	s_waitcnt lgkmcnt(1)
	v_add_u32_e32 v18, v6, v5
	v_add3_u32 v18, v18, v7, v8
	s_waitcnt lgkmcnt(0)
	v_add3_u32 v18, v18, v1, v2
	v_add3_u32 v4, v18, v3, v4
	s_nop 1
	v_mov_b32_dpp v18, v4 row_shr:1 row_mask:0xf bank_mask:0xf
	v_cndmask_b32_e64 v18, v18, 0, s[14:15]
	v_add_u32_e32 v4, v18, v4
	s_nop 1
	v_mov_b32_dpp v18, v4 row_shr:2 row_mask:0xf bank_mask:0xf
	v_cndmask_b32_e64 v18, 0, v18, s[12:13]
	v_add_u32_e32 v4, v4, v18
	s_nop 1
	v_mov_b32_dpp v18, v4 row_shr:4 row_mask:0xf bank_mask:0xf
	v_cndmask_b32_e64 v18, 0, v18, s[10:11]
	v_add_u32_e32 v4, v4, v18
	s_nop 1
	v_mov_b32_dpp v18, v4 row_shr:8 row_mask:0xf bank_mask:0xf
	v_cndmask_b32_e64 v18, 0, v18, s[8:9]
	v_add_u32_e32 v4, v4, v18
	s_nop 1
	v_mov_b32_dpp v18, v4 row_bcast:15 row_mask:0xf bank_mask:0xf
	v_cndmask_b32_e64 v18, v18, 0, s[6:7]
	v_add_u32_e32 v4, v4, v18
	s_nop 1
	v_mov_b32_dpp v18, v4 row_bcast:31 row_mask:0xf bank_mask:0xf
	v_cndmask_b32_e64 v18, 0, v18, s[4:5]
	v_add_u32_e32 v4, v4, v18
	s_and_saveexec_b64 s[16:17], s[2:3]
; %bb.38:
	v_mov_b32_e32 v18, 0
	ds_write_b32 v18, v4 offset:1920
; %bb.39:
	s_or_b64 exec, exec, s[16:17]
	ds_bpermute_b32 v18, v13, v4
	v_mov_b32_e32 v4, 0
	s_waitcnt lgkmcnt(0)
	; wave barrier
	ds_read_b32 v19, v4 offset:1920
	v_cndmask_b32_e64 v18, v18, 0, s[0:1]
	s_waitcnt lgkmcnt(0)
	v_lshl_add_u32 v18, v19, 16, v18
	v_add_u32_e32 v19, v18, v5
	v_add_u32_e32 v5, v19, v6
	;; [unrolled: 1-line block ×7, first 2 shown]
	ds_write2_b64 v12, v[18:19], v[5:6] offset1:1
	ds_write2_b64 v12, v[7:8], v[1:2] offset0:2 offset1:3
	s_waitcnt lgkmcnt(0)
	; wave barrier
	ds_read_u16 v1, v17
	v_mov_b32_e32 v2, 1
	v_lshlrev_b32_sdwa v2, v2, v16 dst_sel:DWORD dst_unused:UNUSED_PAD src0_sel:DWORD src1_sel:WORD_0
	s_waitcnt lgkmcnt(0)
	; wave barrier
	v_lshl_add_u32 v1, v1, 1, v2
	ds_write_b16 v1, v15
	s_waitcnt lgkmcnt(0)
	; wave barrier
	ds_read_u16 v15, v11
	s_waitcnt lgkmcnt(0)
	; wave barrier
	ds_write_b32 v14, v4
	s_and_saveexec_b64 s[18:19], vcc
	s_cbranch_execz .LBB3_47
; %bb.40:
	s_movk_i32 s16, 0x168
	v_cmp_gt_u32_e64 s[16:17], s16, v0
	ds_write_b32 v14, v4 offset:240
	s_and_b64 exec, exec, s[16:17]
	s_cbranch_execz .LBB3_47
; %bb.41:
	s_movk_i32 s16, 0x12c
	v_mov_b32_e32 v1, 0
	v_cmp_gt_u32_e64 s[16:17], s16, v0
	ds_write_b32 v14, v1 offset:480
	s_and_b64 exec, exec, s[16:17]
	s_cbranch_execz .LBB3_47
; %bb.42:
	s_movk_i32 s16, 0xf0
	v_cmp_gt_u32_e64 s[16:17], s16, v0
	ds_write_b32 v14, v1 offset:720
	s_and_b64 exec, exec, s[16:17]
	s_cbranch_execz .LBB3_47
; %bb.43:
	s_movk_i32 s16, 0xb4
	v_mov_b32_e32 v1, 0
	v_cmp_gt_u32_e64 s[16:17], s16, v0
	ds_write_b32 v14, v1 offset:960
	s_and_b64 exec, exec, s[16:17]
	s_cbranch_execz .LBB3_47
; %bb.44:
	s_movk_i32 s16, 0x78
	v_cmp_gt_u32_e64 s[16:17], s16, v0
	ds_write_b32 v14, v1 offset:1200
	s_and_b64 exec, exec, s[16:17]
	s_cbranch_execz .LBB3_47
; %bb.45:
	v_mov_b32_e32 v1, 0
	v_cmp_gt_u32_e64 s[16:17], 60, v0
	ds_write_b32 v14, v1 offset:1440
	s_and_b64 exec, exec, s[16:17]
; %bb.46:
	ds_write_b32 v14, v1 offset:1680
.LBB3_47:
	s_or_b64 exec, exec, s[18:19]
	v_mov_b32_e32 v1, 15
	v_and_b32_sdwa v1, v15, v1 dst_sel:DWORD dst_unused:UNUSED_PAD src0_sel:BYTE_1 src1_sel:DWORD
	v_mov_b32_e32 v2, 7
	v_mov_b32_e32 v3, 2
	v_and_b32_sdwa v2, v1, v2 dst_sel:DWORD dst_unused:UNUSED_PAD src0_sel:WORD_0 src1_sel:DWORD
	v_lshrrev_b32_sdwa v1, v3, v1 dst_sel:DWORD dst_unused:UNUSED_PAD src0_sel:DWORD src1_sel:WORD_0
	v_mad_u32_u24 v2, v2, 60, v0
	v_and_b32_e32 v1, 2, v1
	v_lshl_or_b32 v17, v2, 2, v1
	ds_read_u16 v16, v17
	s_waitcnt lgkmcnt(0)
	v_add_u16_e32 v1, 1, v16
	ds_write_b16 v17, v1
	s_waitcnt lgkmcnt(0)
	; wave barrier
	ds_read2_b64 v[5:8], v12 offset1:1
	ds_read2_b64 v[1:4], v12 offset0:2 offset1:3
	s_waitcnt lgkmcnt(1)
	v_add_u32_e32 v18, v6, v5
	v_add3_u32 v18, v18, v7, v8
	s_waitcnt lgkmcnt(0)
	v_add3_u32 v18, v18, v1, v2
	v_add3_u32 v4, v18, v3, v4
	s_nop 1
	v_mov_b32_dpp v18, v4 row_shr:1 row_mask:0xf bank_mask:0xf
	v_cndmask_b32_e64 v18, v18, 0, s[14:15]
	v_add_u32_e32 v4, v18, v4
	s_nop 1
	v_mov_b32_dpp v18, v4 row_shr:2 row_mask:0xf bank_mask:0xf
	v_cndmask_b32_e64 v18, 0, v18, s[12:13]
	v_add_u32_e32 v4, v4, v18
	;; [unrolled: 4-line block ×4, first 2 shown]
	s_nop 1
	v_mov_b32_dpp v18, v4 row_bcast:15 row_mask:0xf bank_mask:0xf
	v_cndmask_b32_e64 v18, v18, 0, s[6:7]
	v_add_u32_e32 v4, v4, v18
	s_nop 1
	v_mov_b32_dpp v18, v4 row_bcast:31 row_mask:0xf bank_mask:0xf
	v_cndmask_b32_e64 v18, 0, v18, s[4:5]
	v_add_u32_e32 v4, v4, v18
	s_and_saveexec_b64 s[16:17], s[2:3]
; %bb.48:
	v_mov_b32_e32 v18, 0
	ds_write_b32 v18, v4 offset:1920
; %bb.49:
	s_or_b64 exec, exec, s[16:17]
	ds_bpermute_b32 v18, v13, v4
	v_mov_b32_e32 v4, 0
	s_waitcnt lgkmcnt(0)
	; wave barrier
	ds_read_b32 v19, v4 offset:1920
	v_cndmask_b32_e64 v18, v18, 0, s[0:1]
	s_waitcnt lgkmcnt(0)
	v_lshl_add_u32 v18, v19, 16, v18
	v_add_u32_e32 v19, v18, v5
	v_add_u32_e32 v5, v19, v6
	;; [unrolled: 1-line block ×7, first 2 shown]
	ds_write2_b64 v12, v[18:19], v[5:6] offset1:1
	ds_write2_b64 v12, v[7:8], v[1:2] offset0:2 offset1:3
	s_waitcnt lgkmcnt(0)
	; wave barrier
	ds_read_u16 v1, v17
	v_mov_b32_e32 v2, 1
	v_lshlrev_b32_sdwa v2, v2, v16 dst_sel:DWORD dst_unused:UNUSED_PAD src0_sel:DWORD src1_sel:WORD_0
	s_waitcnt lgkmcnt(0)
	; wave barrier
	v_lshl_add_u32 v1, v1, 1, v2
	ds_write_b16 v1, v15
	s_waitcnt lgkmcnt(0)
	; wave barrier
	ds_read_u16 v8, v11
	s_waitcnt lgkmcnt(0)
	; wave barrier
	ds_write_b32 v14, v4
	s_and_saveexec_b64 s[16:17], vcc
	s_cbranch_execz .LBB3_57
; %bb.50:
	s_movk_i32 s18, 0x168
	v_cmp_gt_u32_e32 vcc, s18, v0
	ds_write_b32 v14, v4 offset:240
	s_and_b64 exec, exec, vcc
	s_cbranch_execz .LBB3_57
; %bb.51:
	s_movk_i32 s18, 0x12c
	v_mov_b32_e32 v1, 0
	v_cmp_gt_u32_e32 vcc, s18, v0
	ds_write_b32 v14, v1 offset:480
	s_and_b64 exec, exec, vcc
	s_cbranch_execz .LBB3_57
; %bb.52:
	s_movk_i32 s18, 0xf0
	v_cmp_gt_u32_e32 vcc, s18, v0
	ds_write_b32 v14, v1 offset:720
	s_and_b64 exec, exec, vcc
	s_cbranch_execz .LBB3_57
; %bb.53:
	s_movk_i32 s18, 0xb4
	v_mov_b32_e32 v1, 0
	v_cmp_gt_u32_e32 vcc, s18, v0
	ds_write_b32 v14, v1 offset:960
	s_and_b64 exec, exec, vcc
	s_cbranch_execz .LBB3_57
; %bb.54:
	s_movk_i32 s18, 0x78
	v_cmp_gt_u32_e32 vcc, s18, v0
	ds_write_b32 v14, v1 offset:1200
	s_and_b64 exec, exec, vcc
	s_cbranch_execz .LBB3_57
; %bb.55:
	v_mov_b32_e32 v1, 0
	v_cmp_gt_u32_e32 vcc, 60, v0
	ds_write_b32 v14, v1 offset:1440
	s_and_b64 exec, exec, vcc
; %bb.56:
	ds_write_b32 v14, v1 offset:1680
.LBB3_57:
	s_or_b64 exec, exec, s[16:17]
	v_lshrrev_b16_e32 v1, 12, v8
	v_and_b32_e32 v2, 7, v1
	v_lshrrev_b32_e32 v1, 2, v1
	v_mad_u32_u24 v0, v2, 60, v0
	v_and_b32_e32 v1, 2, v1
	v_lshl_or_b32 v15, v0, 2, v1
	ds_read_u16 v14, v15
	s_waitcnt lgkmcnt(0)
	v_add_u16_e32 v0, 1, v14
	ds_write_b16 v15, v0
	s_waitcnt lgkmcnt(0)
	; wave barrier
	ds_read2_b64 v[4:7], v12 offset1:1
	ds_read2_b64 v[0:3], v12 offset0:2 offset1:3
	s_waitcnt lgkmcnt(1)
	v_add_u32_e32 v16, v5, v4
	v_add3_u32 v16, v16, v6, v7
	s_waitcnt lgkmcnt(0)
	v_add3_u32 v16, v16, v0, v1
	v_add3_u32 v3, v16, v2, v3
	s_nop 1
	v_mov_b32_dpp v16, v3 row_shr:1 row_mask:0xf bank_mask:0xf
	v_cndmask_b32_e64 v16, v16, 0, s[14:15]
	v_add_u32_e32 v3, v16, v3
	s_nop 1
	v_mov_b32_dpp v16, v3 row_shr:2 row_mask:0xf bank_mask:0xf
	v_cndmask_b32_e64 v16, 0, v16, s[12:13]
	v_add_u32_e32 v3, v3, v16
	s_nop 1
	v_mov_b32_dpp v16, v3 row_shr:4 row_mask:0xf bank_mask:0xf
	v_cndmask_b32_e64 v16, 0, v16, s[10:11]
	v_add_u32_e32 v3, v3, v16
	s_nop 1
	v_mov_b32_dpp v16, v3 row_shr:8 row_mask:0xf bank_mask:0xf
	v_cndmask_b32_e64 v16, 0, v16, s[8:9]
	v_add_u32_e32 v3, v3, v16
	s_nop 1
	v_mov_b32_dpp v16, v3 row_bcast:15 row_mask:0xf bank_mask:0xf
	v_cndmask_b32_e64 v16, v16, 0, s[6:7]
	v_add_u32_e32 v3, v3, v16
	s_nop 1
	v_mov_b32_dpp v16, v3 row_bcast:31 row_mask:0xf bank_mask:0xf
	v_cndmask_b32_e64 v16, 0, v16, s[4:5]
	v_add_u32_e32 v3, v3, v16
	s_and_saveexec_b64 s[4:5], s[2:3]
; %bb.58:
	v_mov_b32_e32 v16, 0
	ds_write_b32 v16, v3 offset:1920
; %bb.59:
	s_or_b64 exec, exec, s[4:5]
	ds_bpermute_b32 v3, v13, v3
	v_mov_b32_e32 v13, 0
	s_waitcnt lgkmcnt(0)
	; wave barrier
	ds_read_b32 v13, v13 offset:1920
	v_cndmask_b32_e64 v3, v3, 0, s[0:1]
	s_waitcnt lgkmcnt(0)
	v_lshl_add_u32 v3, v13, 16, v3
	v_add_u32_e32 v4, v3, v4
	v_add_u32_e32 v5, v4, v5
	;; [unrolled: 1-line block ×7, first 2 shown]
	ds_write2_b64 v12, v[3:4], v[5:6] offset1:1
	ds_write2_b64 v12, v[16:17], v[0:1] offset0:2 offset1:3
	s_waitcnt lgkmcnt(0)
	; wave barrier
	ds_read_u16 v0, v15
	v_mov_b32_e32 v1, 1
	v_lshlrev_b32_sdwa v1, v1, v14 dst_sel:DWORD dst_unused:UNUSED_PAD src0_sel:DWORD src1_sel:WORD_0
	s_waitcnt lgkmcnt(0)
	; wave barrier
	v_lshl_add_u32 v0, v0, 1, v1
	ds_write_b16 v0, v8
	s_waitcnt lgkmcnt(0)
	; wave barrier
.LBB3_60:
	ds_read_u16 v0, v11
	s_waitcnt lgkmcnt(0)
	v_xor_b32_e32 v0, -1, v0
	global_store_short v[9:10], v0, off
	s_endpgm
	.section	.rodata,"a",@progbits
	.p2align	6, 0x0
	.amdhsa_kernel _Z15sort_key_kernelILj60ELj1ELb0ELb1EtEvPT3_jj
		.amdhsa_group_segment_fixed_size 1936
		.amdhsa_private_segment_fixed_size 0
		.amdhsa_kernarg_size 16
		.amdhsa_user_sgpr_count 6
		.amdhsa_user_sgpr_private_segment_buffer 1
		.amdhsa_user_sgpr_dispatch_ptr 0
		.amdhsa_user_sgpr_queue_ptr 0
		.amdhsa_user_sgpr_kernarg_segment_ptr 1
		.amdhsa_user_sgpr_dispatch_id 0
		.amdhsa_user_sgpr_flat_scratch_init 0
		.amdhsa_user_sgpr_private_segment_size 0
		.amdhsa_uses_dynamic_stack 0
		.amdhsa_system_sgpr_private_segment_wavefront_offset 0
		.amdhsa_system_sgpr_workgroup_id_x 1
		.amdhsa_system_sgpr_workgroup_id_y 0
		.amdhsa_system_sgpr_workgroup_id_z 0
		.amdhsa_system_sgpr_workgroup_info 0
		.amdhsa_system_vgpr_workitem_id 0
		.amdhsa_next_free_vgpr 25
		.amdhsa_next_free_sgpr 61
		.amdhsa_reserve_vcc 1
		.amdhsa_reserve_flat_scratch 0
		.amdhsa_float_round_mode_32 0
		.amdhsa_float_round_mode_16_64 0
		.amdhsa_float_denorm_mode_32 3
		.amdhsa_float_denorm_mode_16_64 3
		.amdhsa_dx10_clamp 1
		.amdhsa_ieee_mode 1
		.amdhsa_fp16_overflow 0
		.amdhsa_exception_fp_ieee_invalid_op 0
		.amdhsa_exception_fp_denorm_src 0
		.amdhsa_exception_fp_ieee_div_zero 0
		.amdhsa_exception_fp_ieee_overflow 0
		.amdhsa_exception_fp_ieee_underflow 0
		.amdhsa_exception_fp_ieee_inexact 0
		.amdhsa_exception_int_div_zero 0
	.end_amdhsa_kernel
	.section	.text._Z15sort_key_kernelILj60ELj1ELb0ELb1EtEvPT3_jj,"axG",@progbits,_Z15sort_key_kernelILj60ELj1ELb0ELb1EtEvPT3_jj,comdat
.Lfunc_end3:
	.size	_Z15sort_key_kernelILj60ELj1ELb0ELb1EtEvPT3_jj, .Lfunc_end3-_Z15sort_key_kernelILj60ELj1ELb0ELb1EtEvPT3_jj
                                        ; -- End function
	.set _Z15sort_key_kernelILj60ELj1ELb0ELb1EtEvPT3_jj.num_vgpr, 24
	.set _Z15sort_key_kernelILj60ELj1ELb0ELb1EtEvPT3_jj.num_agpr, 0
	.set _Z15sort_key_kernelILj60ELj1ELb0ELb1EtEvPT3_jj.numbered_sgpr, 40
	.set _Z15sort_key_kernelILj60ELj1ELb0ELb1EtEvPT3_jj.num_named_barrier, 0
	.set _Z15sort_key_kernelILj60ELj1ELb0ELb1EtEvPT3_jj.private_seg_size, 0
	.set _Z15sort_key_kernelILj60ELj1ELb0ELb1EtEvPT3_jj.uses_vcc, 1
	.set _Z15sort_key_kernelILj60ELj1ELb0ELb1EtEvPT3_jj.uses_flat_scratch, 0
	.set _Z15sort_key_kernelILj60ELj1ELb0ELb1EtEvPT3_jj.has_dyn_sized_stack, 0
	.set _Z15sort_key_kernelILj60ELj1ELb0ELb1EtEvPT3_jj.has_recursion, 0
	.set _Z15sort_key_kernelILj60ELj1ELb0ELb1EtEvPT3_jj.has_indirect_call, 0
	.section	.AMDGPU.csdata,"",@progbits
; Kernel info:
; codeLenInByte = 3508
; TotalNumSgprs: 44
; NumVgprs: 24
; ScratchSize: 0
; MemoryBound: 0
; FloatMode: 240
; IeeeMode: 1
; LDSByteSize: 1936 bytes/workgroup (compile time only)
; SGPRBlocks: 8
; VGPRBlocks: 6
; NumSGPRsForWavesPerEU: 65
; NumVGPRsForWavesPerEU: 25
; Occupancy: 9
; WaveLimiterHint : 0
; COMPUTE_PGM_RSRC2:SCRATCH_EN: 0
; COMPUTE_PGM_RSRC2:USER_SGPR: 6
; COMPUTE_PGM_RSRC2:TRAP_HANDLER: 0
; COMPUTE_PGM_RSRC2:TGID_X_EN: 1
; COMPUTE_PGM_RSRC2:TGID_Y_EN: 0
; COMPUTE_PGM_RSRC2:TGID_Z_EN: 0
; COMPUTE_PGM_RSRC2:TIDIG_COMP_CNT: 0
	.section	.text._Z15sort_key_kernelILj512ELj2ELb1ELb0EhEvPT3_jj,"axG",@progbits,_Z15sort_key_kernelILj512ELj2ELb1ELb0EhEvPT3_jj,comdat
	.protected	_Z15sort_key_kernelILj512ELj2ELb1ELb0EhEvPT3_jj ; -- Begin function _Z15sort_key_kernelILj512ELj2ELb1ELb0EhEvPT3_jj
	.globl	_Z15sort_key_kernelILj512ELj2ELb1ELb0EhEvPT3_jj
	.p2align	8
	.type	_Z15sort_key_kernelILj512ELj2ELb1ELb0EhEvPT3_jj,@function
_Z15sort_key_kernelILj512ELj2ELb1ELb0EhEvPT3_jj: ; @_Z15sort_key_kernelILj512ELj2ELb1ELb0EhEvPT3_jj
; %bb.0:
	s_load_dwordx4 s[36:39], s[4:5], 0x0
	s_lshl_b32 s0, s6, 10
	v_lshlrev_b32_e32 v3, 1, v0
	v_mbcnt_lo_u32_b32 v5, -1, 0
	v_mbcnt_hi_u32_b32 v14, -1, v5
	s_waitcnt lgkmcnt(0)
	s_add_u32 s36, s36, s0
	s_addc_u32 s37, s37, 0
	global_load_ushort v4, v3, s[36:37]
	s_cmp_lg_u32 s38, 0
	v_lshrrev_b32_e32 v5, 1, v14
	s_cselect_b64 s[12:13], -1, 0
	s_cmp_lg_u32 s39, 8
	v_and_or_b32 v5, v14, 64, v5
	s_cselect_b64 s[14:15], -1, 0
	v_and_b32_e32 v6, 1, v14
	v_lshlrev_b32_e32 v20, 2, v5
	s_or_b64 s[12:13], s[12:13], s[14:15]
	s_mov_b32 s34, 0
	s_mov_b64 s[10:11], -1
	v_lshlrev_b32_e32 v13, 4, v0
	v_cmp_gt_u32_e64 s[2:3], 8, v0
	v_cmp_lt_u32_e64 s[6:7], 63, v0
	v_lshrrev_b32_e32 v17, 4, v0
	v_and_b32_e32 v16, 15, v14
	v_cmp_lt_u32_e64 s[8:9], 31, v14
	v_and_b32_e32 v15, 64, v14
	v_cmp_eq_u32_e64 s[0:1], 0, v6
	v_xor_b32_e32 v18, 0x80, v20
	s_and_b64 vcc, exec, s[12:13]
	s_waitcnt vmcnt(0)
	v_and_b32_e32 v21, 0xff, v4
	v_lshrrev_b16_e32 v19, 8, v4
	s_cbranch_vccz .LBB4_16
; %bb.1:
	ds_bpermute_b32 v4, v20, v19
	ds_bpermute_b32 v5, v18, v21
	;; [unrolled: 1-line block ×3, first 2 shown]
	s_mov_b64 vcc, s[0:1]
	s_waitcnt lgkmcnt(0)
	v_and_b32_e32 v4, 0xff, v4
	v_lshlrev_b16_e32 v5, 8, v5
	v_cndmask_b32_sdwa v6, v4, v6, vcc dst_sel:DWORD dst_unused:UNUSED_PAD src0_sel:DWORD src1_sel:BYTE_0
	v_or_b32_e32 v5, v6, v5
	ds_bpermute_b32 v6, v18, v19
	s_waitcnt lgkmcnt(0)
	s_barrier
	s_load_dword s10, s[4:5], 0x1c
	v_cndmask_b32_e64 v4, v4, v5, s[0:1]
	v_lshlrev_b16_e32 v6, 8, v6
	v_or_b32_sdwa v4, v4, v6 dst_sel:DWORD dst_unused:UNUSED_PAD src0_sel:BYTE_0 src1_sel:DWORD
	v_cndmask_b32_e64 v4, v4, v5, s[0:1]
	s_waitcnt lgkmcnt(0)
	s_lshr_b32 s11, s10, 16
	v_and_b32_e32 v22, 0xffff, v4
	s_and_b32 s10, s10, 0xffff
	v_mad_u32_u24 v4, v2, s11, v1
	v_mad_u64_u32 v[4:5], s[10:11], v4, s10, v[0:1]
	v_and_b32_e32 v5, 16, v14
	v_cmp_eq_u32_e64 s[18:19], 0, v5
	v_or_b32_e32 v5, 63, v0
	v_cmp_eq_u32_e64 s[20:21], v0, v5
	v_subrev_co_u32_e64 v5, s[22:23], 1, v14
	v_cmp_lt_i32_e32 vcc, v5, v15
	v_cndmask_b32_e32 v5, v5, v14, vcc
	v_lshlrev_b32_e32 v23, 2, v5
	v_and_b32_e32 v5, 7, v14
	s_mov_b32 s42, s34
	v_cmp_eq_u32_e64 s[26:27], 0, v5
	v_cmp_lt_u32_e64 s[28:29], 1, v5
	v_cmp_lt_u32_e64 s[30:31], 3, v5
	v_mul_i32_i24_e32 v5, -12, v0
	v_lshrrev_b32_e32 v4, 4, v4
	v_and_b32_e32 v3, 0x380, v3
	s_mov_b32 s35, s34
	s_mov_b32 s43, s34
	v_mov_b32_e32 v7, s34
	v_mov_b32_e32 v9, s42
	v_cmp_eq_u32_e64 s[10:11], 0, v16
	v_cmp_lt_u32_e64 s[12:13], 1, v16
	v_cmp_lt_u32_e64 s[14:15], 3, v16
	;; [unrolled: 1-line block ×3, first 2 shown]
	v_cmp_eq_u32_e64 s[24:25], 0, v0
	v_and_b32_e32 v24, 28, v17
	v_and_b32_e32 v25, 0xffffffc, v4
	s_sub_i32 s40, s39, s38
	v_add_u32_e32 v26, v13, v5
	v_add_u32_e32 v27, v14, v3
	s_mov_b32 s33, 0xc0c0004
	v_mov_b32_e32 v8, s35
	v_mov_b32_e32 v10, s43
	;; [unrolled: 1-line block ×3, first 2 shown]
	s_branch .LBB4_3
.LBB4_2:                                ;   in Loop: Header=BB4_3 Depth=1
	s_andn2_b64 vcc, exec, s[34:35]
	s_mov_b32 s40, s41
	s_cbranch_vccz .LBB4_15
.LBB4_3:                                ; =>This Inner Loop Header: Depth=1
	s_min_u32 s34, s40, 8
	s_lshl_b32 s34, -1, s34
	s_not_b32 s41, s34
	v_lshrrev_b32_sdwa v3, s38, v22 dst_sel:DWORD dst_unused:UNUSED_PAD src0_sel:DWORD src1_sel:BYTE_0
	v_and_b32_e32 v3, s41, v3
	v_and_b32_e32 v4, 1, v3
	v_add_co_u32_e32 v6, vcc, -1, v4
	v_addc_co_u32_e64 v12, s[34:35], 0, -1, vcc
	v_cmp_ne_u32_e32 vcc, 0, v4
	v_xor_b32_e32 v4, vcc_hi, v12
	v_lshlrev_b32_e32 v12, 30, v3
	v_xor_b32_e32 v6, vcc_lo, v6
	v_cmp_gt_i64_e32 vcc, 0, v[11:12]
	v_not_b32_e32 v12, v12
	v_ashrrev_i32_e32 v12, 31, v12
	v_and_b32_e32 v6, exec_lo, v6
	v_xor_b32_e32 v28, vcc_hi, v12
	v_xor_b32_e32 v12, vcc_lo, v12
	v_and_b32_e32 v6, v6, v12
	v_lshlrev_b32_e32 v12, 29, v3
	v_cmp_gt_i64_e32 vcc, 0, v[11:12]
	v_not_b32_e32 v12, v12
	v_and_b32_e32 v4, exec_hi, v4
	v_ashrrev_i32_e32 v12, 31, v12
	v_and_b32_e32 v4, v4, v28
	v_xor_b32_e32 v28, vcc_hi, v12
	v_xor_b32_e32 v12, vcc_lo, v12
	v_and_b32_e32 v6, v6, v12
	v_lshlrev_b32_e32 v12, 28, v3
	v_cmp_gt_i64_e32 vcc, 0, v[11:12]
	v_not_b32_e32 v12, v12
	v_ashrrev_i32_e32 v12, 31, v12
	v_and_b32_e32 v4, v4, v28
	v_xor_b32_e32 v28, vcc_hi, v12
	v_xor_b32_e32 v12, vcc_lo, v12
	v_and_b32_e32 v6, v6, v12
	v_lshlrev_b32_e32 v12, 27, v3
	v_cmp_gt_i64_e32 vcc, 0, v[11:12]
	v_not_b32_e32 v12, v12
	;; [unrolled: 8-line block ×4, first 2 shown]
	v_ashrrev_i32_e32 v12, 31, v12
	v_and_b32_e32 v4, v4, v28
	v_xor_b32_e32 v28, vcc_hi, v12
	v_xor_b32_e32 v12, vcc_lo, v12
	v_and_b32_e32 v6, v6, v12
	v_lshlrev_b32_e32 v12, 24, v3
	v_lshlrev_b32_e32 v5, 5, v3
	v_cmp_gt_i64_e32 vcc, 0, v[11:12]
	v_not_b32_e32 v3, v12
	v_ashrrev_i32_e32 v3, 31, v3
	v_xor_b32_e32 v12, vcc_hi, v3
	v_xor_b32_e32 v3, vcc_lo, v3
	v_and_b32_e32 v4, v4, v28
	v_and_b32_e32 v3, v6, v3
	;; [unrolled: 1-line block ×3, first 2 shown]
	v_mbcnt_lo_u32_b32 v6, v3, 0
	v_mbcnt_hi_u32_b32 v28, v4, v6
	v_cmp_ne_u64_e32 vcc, 0, v[3:4]
	v_cmp_eq_u32_e64 s[34:35], 0, v28
	s_and_b64 s[42:43], vcc, s[34:35]
	v_add_u32_e32 v30, v25, v5
	ds_write2_b64 v13, v[7:8], v[9:10] offset0:4 offset1:5
	s_waitcnt lgkmcnt(0)
	s_barrier
	; wave barrier
	s_and_saveexec_b64 s[34:35], s[42:43]
; %bb.4:                                ;   in Loop: Header=BB4_3 Depth=1
	v_bcnt_u32_b32 v3, v3, 0
	v_bcnt_u32_b32 v3, v4, v3
	ds_write_b32 v30, v3 offset:32
; %bb.5:                                ;   in Loop: Header=BB4_3 Depth=1
	s_or_b64 exec, exec, s[34:35]
	v_lshrrev_b16_e32 v29, 8, v22
	v_lshrrev_b32_e32 v3, s38, v29
	v_and_b32_e32 v3, s41, v3
	v_lshlrev_b32_e32 v4, 5, v3
	v_add_u32_e32 v32, v25, v4
	v_and_b32_e32 v4, 1, v3
	v_add_co_u32_e32 v5, vcc, -1, v4
	v_addc_co_u32_e64 v6, s[34:35], 0, -1, vcc
	v_cmp_ne_u32_e32 vcc, 0, v4
	v_lshlrev_b32_e32 v12, 30, v3
	v_xor_b32_e32 v4, vcc_hi, v6
	v_xor_b32_e32 v5, vcc_lo, v5
	v_cmp_gt_i64_e32 vcc, 0, v[11:12]
	v_not_b32_e32 v6, v12
	v_ashrrev_i32_e32 v6, 31, v6
	v_and_b32_e32 v4, exec_hi, v4
	v_xor_b32_e32 v12, vcc_hi, v6
	v_and_b32_e32 v5, exec_lo, v5
	v_xor_b32_e32 v6, vcc_lo, v6
	v_and_b32_e32 v4, v4, v12
	v_lshlrev_b32_e32 v12, 29, v3
	v_and_b32_e32 v5, v5, v6
	v_cmp_gt_i64_e32 vcc, 0, v[11:12]
	v_not_b32_e32 v6, v12
	v_ashrrev_i32_e32 v6, 31, v6
	v_xor_b32_e32 v12, vcc_hi, v6
	v_xor_b32_e32 v6, vcc_lo, v6
	v_and_b32_e32 v4, v4, v12
	v_lshlrev_b32_e32 v12, 28, v3
	v_and_b32_e32 v5, v5, v6
	v_cmp_gt_i64_e32 vcc, 0, v[11:12]
	v_not_b32_e32 v6, v12
	v_ashrrev_i32_e32 v6, 31, v6
	v_xor_b32_e32 v12, vcc_hi, v6
	;; [unrolled: 8-line block ×5, first 2 shown]
	v_and_b32_e32 v4, v4, v12
	v_lshlrev_b32_e32 v12, 24, v3
	v_xor_b32_e32 v6, vcc_lo, v6
	v_cmp_gt_i64_e32 vcc, 0, v[11:12]
	v_not_b32_e32 v3, v12
	v_ashrrev_i32_e32 v3, 31, v3
	v_and_b32_e32 v5, v5, v6
	v_xor_b32_e32 v6, vcc_hi, v3
	v_xor_b32_e32 v3, vcc_lo, v3
	; wave barrier
	ds_read_b32 v31, v32 offset:32
	v_and_b32_e32 v3, v5, v3
	v_and_b32_e32 v4, v4, v6
	v_mbcnt_lo_u32_b32 v5, v3, 0
	v_mbcnt_hi_u32_b32 v12, v4, v5
	v_cmp_ne_u64_e32 vcc, 0, v[3:4]
	v_cmp_eq_u32_e64 s[34:35], 0, v12
	s_and_b64 s[42:43], vcc, s[34:35]
	; wave barrier
	s_and_saveexec_b64 s[34:35], s[42:43]
	s_cbranch_execz .LBB4_7
; %bb.6:                                ;   in Loop: Header=BB4_3 Depth=1
	v_bcnt_u32_b32 v3, v3, 0
	v_bcnt_u32_b32 v3, v4, v3
	s_waitcnt lgkmcnt(0)
	v_add_u32_e32 v3, v31, v3
	ds_write_b32 v32, v3 offset:32
.LBB4_7:                                ;   in Loop: Header=BB4_3 Depth=1
	s_or_b64 exec, exec, s[34:35]
	; wave barrier
	s_waitcnt lgkmcnt(0)
	s_barrier
	ds_read2_b64 v[3:6], v13 offset0:4 offset1:5
	s_waitcnt lgkmcnt(0)
	v_add_u32_e32 v33, v4, v3
	v_add3_u32 v6, v33, v5, v6
	s_nop 1
	v_mov_b32_dpp v33, v6 row_shr:1 row_mask:0xf bank_mask:0xf
	v_cndmask_b32_e64 v33, v33, 0, s[10:11]
	v_add_u32_e32 v6, v33, v6
	s_nop 1
	v_mov_b32_dpp v33, v6 row_shr:2 row_mask:0xf bank_mask:0xf
	v_cndmask_b32_e64 v33, 0, v33, s[12:13]
	v_add_u32_e32 v6, v6, v33
	;; [unrolled: 4-line block ×4, first 2 shown]
	s_nop 1
	v_mov_b32_dpp v33, v6 row_bcast:15 row_mask:0xf bank_mask:0xf
	v_cndmask_b32_e64 v33, v33, 0, s[18:19]
	v_add_u32_e32 v6, v6, v33
	s_nop 1
	v_mov_b32_dpp v33, v6 row_bcast:31 row_mask:0xf bank_mask:0xf
	v_cndmask_b32_e64 v33, 0, v33, s[8:9]
	v_add_u32_e32 v6, v6, v33
	s_and_saveexec_b64 s[34:35], s[20:21]
; %bb.8:                                ;   in Loop: Header=BB4_3 Depth=1
	ds_write_b32 v24, v6
; %bb.9:                                ;   in Loop: Header=BB4_3 Depth=1
	s_or_b64 exec, exec, s[34:35]
	s_waitcnt lgkmcnt(0)
	s_barrier
	s_and_saveexec_b64 s[34:35], s[2:3]
	s_cbranch_execz .LBB4_11
; %bb.10:                               ;   in Loop: Header=BB4_3 Depth=1
	ds_read_b32 v33, v26
	s_waitcnt lgkmcnt(0)
	s_nop 0
	v_mov_b32_dpp v34, v33 row_shr:1 row_mask:0xf bank_mask:0xf
	v_cndmask_b32_e64 v34, v34, 0, s[26:27]
	v_add_u32_e32 v33, v34, v33
	s_nop 1
	v_mov_b32_dpp v34, v33 row_shr:2 row_mask:0xf bank_mask:0xf
	v_cndmask_b32_e64 v34, 0, v34, s[28:29]
	v_add_u32_e32 v33, v33, v34
	;; [unrolled: 4-line block ×3, first 2 shown]
	ds_write_b32 v26, v33
.LBB4_11:                               ;   in Loop: Header=BB4_3 Depth=1
	s_or_b64 exec, exec, s[34:35]
	v_mov_b32_e32 v33, 0
	s_waitcnt lgkmcnt(0)
	s_barrier
	s_and_saveexec_b64 s[34:35], s[6:7]
; %bb.12:                               ;   in Loop: Header=BB4_3 Depth=1
	v_add_u32_e32 v33, -4, v24
	ds_read_b32 v33, v33
; %bb.13:                               ;   in Loop: Header=BB4_3 Depth=1
	s_or_b64 exec, exec, s[34:35]
	s_waitcnt lgkmcnt(0)
	v_add_u32_e32 v6, v33, v6
	ds_bpermute_b32 v34, v23, v6
	s_add_i32 s38, s38, 8
	v_mov_b32_e32 v6, v22
	s_cmp_ge_u32 s38, s39
	s_mov_b64 s[34:35], -1
	s_waitcnt lgkmcnt(0)
	v_cndmask_b32_e64 v33, v34, v33, s[22:23]
	v_cndmask_b32_e64 v33, v33, 0, s[24:25]
	v_add_u32_e32 v34, v33, v3
	v_add_u32_e32 v3, v34, v4
	;; [unrolled: 1-line block ×3, first 2 shown]
	ds_write2_b64 v13, v[33:34], v[3:4] offset0:4 offset1:5
	s_waitcnt lgkmcnt(0)
	s_barrier
	ds_read_b32 v4, v30 offset:32
	ds_read_b32 v3, v32 offset:32
	v_add_u32_e32 v5, v12, v31
	v_readfirstlane_b32 s41, v0
	s_waitcnt lgkmcnt(0)
	s_cbranch_scc1 .LBB4_2
; %bb.14:                               ;   in Loop: Header=BB4_3 Depth=1
	v_add_u32_e32 v12, v4, v28
	s_barrier
	ds_write_b8 v12, v22
	v_add_u32_e32 v12, v5, v3
	ds_write_b8 v12, v29
	s_waitcnt lgkmcnt(0)
	s_barrier
	ds_read_u8 v12, v27 offset:64
	ds_read_u8 v22, v27
	s_add_i32 s41, s40, -8
	s_mov_b64 s[34:35], 0
	s_waitcnt lgkmcnt(0)
	s_barrier
	v_perm_b32 v22, v22, v12, s33
	s_branch .LBB4_2
.LBB4_15:
	v_add_u32_e32 v4, v4, v28
	v_add_u32_e32 v3, v5, v3
	s_mov_b64 s[10:11], 0
	s_barrier
	ds_write_b8 v4, v6
	ds_write_b8 v3, v29
	s_waitcnt lgkmcnt(0)
	s_barrier
.LBB4_16:
	s_and_b64 vcc, exec, s[10:11]
	s_cbranch_vccz .LBB4_28
; %bb.17:
	ds_bpermute_b32 v3, v20, v19
	ds_bpermute_b32 v4, v20, v21
	;; [unrolled: 1-line block ×3, first 2 shown]
	s_waitcnt lgkmcnt(0)
	s_barrier
	s_load_dword s2, s[4:5], 0x1c
	s_mov_b64 vcc, s[0:1]
	v_and_b32_e32 v3, 0xff, v3
	v_cndmask_b32_sdwa v4, v3, v4, vcc dst_sel:DWORD dst_unused:UNUSED_PAD src0_sel:DWORD src1_sel:BYTE_0
	v_lshlrev_b16_e32 v5, 8, v5
	v_or_b32_e32 v4, v4, v5
	ds_bpermute_b32 v5, v18, v19
	s_waitcnt lgkmcnt(0)
	s_lshr_b32 s3, s2, 16
	s_and_b32 s2, s2, 0xffff
	v_mad_u32_u24 v1, v2, s3, v1
	v_mad_u64_u32 v[1:2], s[2:3], v1, s2, v[0:1]
	v_cndmask_b32_e64 v3, v3, v4, s[0:1]
	v_lshlrev_b16_e32 v2, 8, v5
	v_or_b32_sdwa v2, v3, v2 dst_sel:DWORD dst_unused:UNUSED_PAD src0_sel:BYTE_0 src1_sel:DWORD
	v_cndmask_b32_e64 v5, v2, v4, s[0:1]
	s_mov_b32 s0, 0
	s_mov_b32 s1, s0
	;; [unrolled: 1-line block ×3, first 2 shown]
	v_lshrrev_b32_e32 v6, 6, v1
	s_mov_b32 s2, s0
	v_mov_b32_e32 v2, s1
	v_mov_b32_e32 v4, s3
	;; [unrolled: 1-line block ×4, first 2 shown]
	ds_write2_b64 v13, v[1:2], v[3:4] offset0:4 offset1:5
	v_and_b32_e32 v2, 1, v5
	v_add_co_u32_e32 v3, vcc, -1, v2
	v_addc_co_u32_e64 v7, s[0:1], 0, -1, vcc
	v_cmp_ne_u32_e32 vcc, 0, v2
	v_lshlrev_b32_e32 v4, 2, v6
	v_and_b32_e32 v1, 0xff, v5
	v_xor_b32_e32 v2, vcc_hi, v7
	v_lshl_add_u32 v6, v1, 5, v4
	v_mov_b32_e32 v1, 0
	v_and_b32_e32 v7, exec_hi, v2
	v_lshlrev_b32_e32 v2, 30, v5
	v_xor_b32_e32 v3, vcc_lo, v3
	v_cmp_gt_i64_e32 vcc, 0, v[1:2]
	v_not_b32_e32 v2, v2
	v_ashrrev_i32_e32 v2, 31, v2
	v_and_b32_e32 v3, exec_lo, v3
	v_xor_b32_e32 v8, vcc_hi, v2
	v_xor_b32_e32 v2, vcc_lo, v2
	v_and_b32_e32 v3, v3, v2
	v_lshlrev_b32_e32 v2, 29, v5
	v_cmp_gt_i64_e32 vcc, 0, v[1:2]
	v_not_b32_e32 v2, v2
	v_ashrrev_i32_e32 v2, 31, v2
	v_and_b32_e32 v7, v7, v8
	v_xor_b32_e32 v8, vcc_hi, v2
	v_xor_b32_e32 v2, vcc_lo, v2
	v_and_b32_e32 v3, v3, v2
	v_lshlrev_b32_e32 v2, 28, v5
	v_cmp_gt_i64_e32 vcc, 0, v[1:2]
	v_not_b32_e32 v2, v2
	v_ashrrev_i32_e32 v2, 31, v2
	v_and_b32_e32 v7, v7, v8
	;; [unrolled: 8-line block ×5, first 2 shown]
	v_xor_b32_e32 v8, vcc_hi, v2
	v_xor_b32_e32 v2, vcc_lo, v2
	v_and_b32_e32 v7, v7, v8
	v_and_b32_e32 v8, v3, v2
	v_lshlrev_b32_e32 v2, 24, v5
	v_cmp_gt_i64_e32 vcc, 0, v[1:2]
	v_not_b32_e32 v2, v2
	v_ashrrev_i32_e32 v2, 31, v2
	v_xor_b32_e32 v3, vcc_hi, v2
	v_xor_b32_e32 v2, vcc_lo, v2
	v_and_b32_e32 v2, v8, v2
	v_and_b32_e32 v3, v7, v3
	v_mbcnt_lo_u32_b32 v7, v2, 0
	v_mbcnt_hi_u32_b32 v7, v3, v7
	v_cmp_ne_u64_e32 vcc, 0, v[2:3]
	v_cmp_eq_u32_e64 s[0:1], 0, v7
	s_and_b64 s[2:3], vcc, s[0:1]
	s_waitcnt lgkmcnt(0)
	s_barrier
	; wave barrier
	s_and_saveexec_b64 s[0:1], s[2:3]
; %bb.18:
	v_bcnt_u32_b32 v2, v2, 0
	v_bcnt_u32_b32 v2, v3, v2
	ds_write_b32 v6, v2 offset:32
; %bb.19:
	s_or_b64 exec, exec, s[0:1]
	v_mov_b32_e32 v2, 8
	v_lshrrev_b16_sdwa v8, v2, v5 dst_sel:DWORD dst_unused:UNUSED_PAD src0_sel:DWORD src1_sel:WORD_0
	v_and_b32_e32 v2, 1, v8
	v_add_co_u32_e32 v3, vcc, -1, v2
	v_lshl_add_u32 v10, v8, 5, v4
	v_addc_co_u32_e64 v4, s[0:1], 0, -1, vcc
	v_cmp_ne_u32_e32 vcc, 0, v2
	v_xor_b32_e32 v2, vcc_hi, v4
	v_and_b32_e32 v4, exec_hi, v2
	v_lshlrev_b32_e32 v2, 30, v8
	v_xor_b32_e32 v3, vcc_lo, v3
	v_cmp_gt_i64_e32 vcc, 0, v[1:2]
	v_not_b32_e32 v2, v2
	v_ashrrev_i32_e32 v2, 31, v2
	v_and_b32_e32 v3, exec_lo, v3
	v_xor_b32_e32 v11, vcc_hi, v2
	v_xor_b32_e32 v2, vcc_lo, v2
	v_and_b32_e32 v3, v3, v2
	v_lshlrev_b32_e32 v2, 29, v8
	v_cmp_gt_i64_e32 vcc, 0, v[1:2]
	v_not_b32_e32 v2, v2
	v_ashrrev_i32_e32 v2, 31, v2
	v_and_b32_e32 v4, v4, v11
	v_xor_b32_e32 v11, vcc_hi, v2
	v_xor_b32_e32 v2, vcc_lo, v2
	v_and_b32_e32 v3, v3, v2
	v_lshlrev_b32_e32 v2, 28, v8
	v_cmp_gt_i64_e32 vcc, 0, v[1:2]
	v_not_b32_e32 v2, v2
	v_ashrrev_i32_e32 v2, 31, v2
	v_and_b32_e32 v4, v4, v11
	;; [unrolled: 8-line block ×5, first 2 shown]
	v_xor_b32_e32 v11, vcc_hi, v2
	v_xor_b32_e32 v2, vcc_lo, v2
	v_and_b32_e32 v3, v3, v2
	v_lshlrev_b32_e32 v2, 24, v8
	v_cmp_gt_i64_e32 vcc, 0, v[1:2]
	v_not_b32_e32 v1, v2
	v_ashrrev_i32_e32 v1, 31, v1
	v_xor_b32_e32 v2, vcc_hi, v1
	v_xor_b32_e32 v1, vcc_lo, v1
	; wave barrier
	ds_read_b32 v9, v10 offset:32
	v_and_b32_e32 v4, v4, v11
	v_and_b32_e32 v1, v3, v1
	v_and_b32_e32 v2, v4, v2
	v_mbcnt_lo_u32_b32 v3, v1, 0
	v_mbcnt_hi_u32_b32 v11, v2, v3
	v_cmp_ne_u64_e32 vcc, 0, v[1:2]
	v_cmp_eq_u32_e64 s[0:1], 0, v11
	v_and_b32_e32 v12, 0x1c0, v0
	s_and_b64 s[2:3], vcc, s[0:1]
	; wave barrier
	s_and_saveexec_b64 s[0:1], s[2:3]
	s_cbranch_execz .LBB4_21
; %bb.20:
	v_bcnt_u32_b32 v1, v1, 0
	v_bcnt_u32_b32 v1, v2, v1
	s_waitcnt lgkmcnt(0)
	v_add_u32_e32 v1, v9, v1
	ds_write_b32 v10, v1 offset:32
.LBB4_21:
	s_or_b64 exec, exec, s[0:1]
	; wave barrier
	s_waitcnt lgkmcnt(0)
	s_barrier
	ds_read2_b64 v[1:4], v13 offset0:4 offset1:5
	v_or_b32_e32 v12, 63, v12
	v_cmp_eq_u32_e32 vcc, v0, v12
	v_and_b32_e32 v12, 28, v17
	v_cmp_ne_u32_e64 s[0:1], 0, v16
	s_waitcnt lgkmcnt(0)
	v_add_u32_e32 v17, v2, v1
	v_add3_u32 v4, v17, v3, v4
	v_bfe_i32 v18, v14, 4, 1
	s_nop 0
	v_mov_b32_dpp v17, v4 row_shr:1 row_mask:0xf bank_mask:0xf
	v_cndmask_b32_e64 v17, 0, v17, s[0:1]
	v_add_u32_e32 v4, v17, v4
	v_cmp_lt_u32_e64 s[0:1], 1, v16
	s_nop 0
	v_mov_b32_dpp v17, v4 row_shr:2 row_mask:0xf bank_mask:0xf
	v_cndmask_b32_e64 v17, 0, v17, s[0:1]
	v_add_u32_e32 v4, v4, v17
	v_cmp_lt_u32_e64 s[0:1], 3, v16
	;; [unrolled: 5-line block ×4, first 2 shown]
	s_nop 0
	v_mov_b32_dpp v16, v4 row_bcast:15 row_mask:0xf bank_mask:0xf
	v_and_b32_e32 v16, v18, v16
	v_add_u32_e32 v4, v4, v16
	s_nop 1
	v_mov_b32_dpp v16, v4 row_bcast:31 row_mask:0xf bank_mask:0xf
	v_cndmask_b32_e64 v16, 0, v16, s[0:1]
	v_add_u32_e32 v4, v4, v16
	s_and_saveexec_b64 s[0:1], vcc
; %bb.22:
	ds_write_b32 v12, v4
; %bb.23:
	s_or_b64 exec, exec, s[0:1]
	v_cmp_gt_u32_e32 vcc, 8, v0
	s_waitcnt lgkmcnt(0)
	s_barrier
	s_and_saveexec_b64 s[0:1], vcc
	s_cbranch_execz .LBB4_25
; %bb.24:
	v_mul_i32_i24_e32 v16, -12, v0
	v_add_u32_e32 v16, v13, v16
	ds_read_b32 v17, v16
	v_and_b32_e32 v18, 7, v14
	v_cmp_ne_u32_e32 vcc, 0, v18
	s_waitcnt lgkmcnt(0)
	v_mov_b32_dpp v19, v17 row_shr:1 row_mask:0xf bank_mask:0xf
	v_cndmask_b32_e32 v19, 0, v19, vcc
	v_add_u32_e32 v17, v19, v17
	v_cmp_lt_u32_e32 vcc, 1, v18
	s_nop 0
	v_mov_b32_dpp v19, v17 row_shr:2 row_mask:0xf bank_mask:0xf
	v_cndmask_b32_e32 v19, 0, v19, vcc
	v_add_u32_e32 v17, v17, v19
	v_cmp_lt_u32_e32 vcc, 3, v18
	s_nop 0
	v_mov_b32_dpp v19, v17 row_shr:4 row_mask:0xf bank_mask:0xf
	v_cndmask_b32_e32 v18, 0, v19, vcc
	v_add_u32_e32 v17, v17, v18
	ds_write_b32 v16, v17
.LBB4_25:
	s_or_b64 exec, exec, s[0:1]
	v_cmp_lt_u32_e32 vcc, 63, v0
	v_mov_b32_e32 v16, 0
	s_waitcnt lgkmcnt(0)
	s_barrier
	s_and_saveexec_b64 s[0:1], vcc
; %bb.26:
	v_add_u32_e32 v12, -4, v12
	ds_read_b32 v16, v12
; %bb.27:
	s_or_b64 exec, exec, s[0:1]
	v_subrev_co_u32_e32 v12, vcc, 1, v14
	v_cmp_lt_i32_e64 s[0:1], v12, v15
	v_cndmask_b32_e64 v12, v12, v14, s[0:1]
	v_lshlrev_b32_e32 v12, 2, v12
	s_waitcnt lgkmcnt(0)
	v_add_u32_e32 v4, v16, v4
	ds_bpermute_b32 v4, v12, v4
	s_waitcnt lgkmcnt(0)
	v_cndmask_b32_e32 v4, v4, v16, vcc
	v_cmp_ne_u32_e32 vcc, 0, v0
	v_cndmask_b32_e32 v14, 0, v4, vcc
	v_add_u32_e32 v15, v14, v1
	v_add_u32_e32 v1, v15, v2
	;; [unrolled: 1-line block ×3, first 2 shown]
	ds_write2_b64 v13, v[14:15], v[1:2] offset0:4 offset1:5
	s_waitcnt lgkmcnt(0)
	s_barrier
	ds_read_b32 v1, v6 offset:32
	ds_read_b32 v2, v10 offset:32
	s_waitcnt lgkmcnt(0)
	s_barrier
	v_add_u32_e32 v1, v1, v7
	ds_write_b8 v1, v5
	v_add3_u32 v1, v11, v9, v2
	ds_write_b8 v1, v8
	s_waitcnt lgkmcnt(0)
	s_barrier
.LBB4_28:
	ds_read_u8 v1, v0
	ds_read_u8 v2, v0 offset:512
	s_waitcnt lgkmcnt(1)
	global_store_byte v0, v1, s[36:37]
	s_waitcnt lgkmcnt(0)
	global_store_byte v0, v2, s[36:37] offset:512
	s_endpgm
	.section	.rodata,"a",@progbits
	.p2align	6, 0x0
	.amdhsa_kernel _Z15sort_key_kernelILj512ELj2ELb1ELb0EhEvPT3_jj
		.amdhsa_group_segment_fixed_size 8224
		.amdhsa_private_segment_fixed_size 0
		.amdhsa_kernarg_size 272
		.amdhsa_user_sgpr_count 6
		.amdhsa_user_sgpr_private_segment_buffer 1
		.amdhsa_user_sgpr_dispatch_ptr 0
		.amdhsa_user_sgpr_queue_ptr 0
		.amdhsa_user_sgpr_kernarg_segment_ptr 1
		.amdhsa_user_sgpr_dispatch_id 0
		.amdhsa_user_sgpr_flat_scratch_init 0
		.amdhsa_user_sgpr_private_segment_size 0
		.amdhsa_uses_dynamic_stack 0
		.amdhsa_system_sgpr_private_segment_wavefront_offset 0
		.amdhsa_system_sgpr_workgroup_id_x 1
		.amdhsa_system_sgpr_workgroup_id_y 0
		.amdhsa_system_sgpr_workgroup_id_z 0
		.amdhsa_system_sgpr_workgroup_info 0
		.amdhsa_system_vgpr_workitem_id 2
		.amdhsa_next_free_vgpr 35
		.amdhsa_next_free_sgpr 44
		.amdhsa_reserve_vcc 1
		.amdhsa_reserve_flat_scratch 0
		.amdhsa_float_round_mode_32 0
		.amdhsa_float_round_mode_16_64 0
		.amdhsa_float_denorm_mode_32 3
		.amdhsa_float_denorm_mode_16_64 3
		.amdhsa_dx10_clamp 1
		.amdhsa_ieee_mode 1
		.amdhsa_fp16_overflow 0
		.amdhsa_exception_fp_ieee_invalid_op 0
		.amdhsa_exception_fp_denorm_src 0
		.amdhsa_exception_fp_ieee_div_zero 0
		.amdhsa_exception_fp_ieee_overflow 0
		.amdhsa_exception_fp_ieee_underflow 0
		.amdhsa_exception_fp_ieee_inexact 0
		.amdhsa_exception_int_div_zero 0
	.end_amdhsa_kernel
	.section	.text._Z15sort_key_kernelILj512ELj2ELb1ELb0EhEvPT3_jj,"axG",@progbits,_Z15sort_key_kernelILj512ELj2ELb1ELb0EhEvPT3_jj,comdat
.Lfunc_end4:
	.size	_Z15sort_key_kernelILj512ELj2ELb1ELb0EhEvPT3_jj, .Lfunc_end4-_Z15sort_key_kernelILj512ELj2ELb1ELb0EhEvPT3_jj
                                        ; -- End function
	.set _Z15sort_key_kernelILj512ELj2ELb1ELb0EhEvPT3_jj.num_vgpr, 35
	.set _Z15sort_key_kernelILj512ELj2ELb1ELb0EhEvPT3_jj.num_agpr, 0
	.set _Z15sort_key_kernelILj512ELj2ELb1ELb0EhEvPT3_jj.numbered_sgpr, 44
	.set _Z15sort_key_kernelILj512ELj2ELb1ELb0EhEvPT3_jj.num_named_barrier, 0
	.set _Z15sort_key_kernelILj512ELj2ELb1ELb0EhEvPT3_jj.private_seg_size, 0
	.set _Z15sort_key_kernelILj512ELj2ELb1ELb0EhEvPT3_jj.uses_vcc, 1
	.set _Z15sort_key_kernelILj512ELj2ELb1ELb0EhEvPT3_jj.uses_flat_scratch, 0
	.set _Z15sort_key_kernelILj512ELj2ELb1ELb0EhEvPT3_jj.has_dyn_sized_stack, 0
	.set _Z15sort_key_kernelILj512ELj2ELb1ELb0EhEvPT3_jj.has_recursion, 0
	.set _Z15sort_key_kernelILj512ELj2ELb1ELb0EhEvPT3_jj.has_indirect_call, 0
	.section	.AMDGPU.csdata,"",@progbits
; Kernel info:
; codeLenInByte = 3352
; TotalNumSgprs: 48
; NumVgprs: 35
; ScratchSize: 0
; MemoryBound: 0
; FloatMode: 240
; IeeeMode: 1
; LDSByteSize: 8224 bytes/workgroup (compile time only)
; SGPRBlocks: 5
; VGPRBlocks: 8
; NumSGPRsForWavesPerEU: 48
; NumVGPRsForWavesPerEU: 35
; Occupancy: 7
; WaveLimiterHint : 1
; COMPUTE_PGM_RSRC2:SCRATCH_EN: 0
; COMPUTE_PGM_RSRC2:USER_SGPR: 6
; COMPUTE_PGM_RSRC2:TRAP_HANDLER: 0
; COMPUTE_PGM_RSRC2:TGID_X_EN: 1
; COMPUTE_PGM_RSRC2:TGID_Y_EN: 0
; COMPUTE_PGM_RSRC2:TGID_Z_EN: 0
; COMPUTE_PGM_RSRC2:TIDIG_COMP_CNT: 2
	.section	.text._Z15sort_key_kernelILj162ELj2ELb1ELb1EjEvPT3_jj,"axG",@progbits,_Z15sort_key_kernelILj162ELj2ELb1ELb1EjEvPT3_jj,comdat
	.protected	_Z15sort_key_kernelILj162ELj2ELb1ELb1EjEvPT3_jj ; -- Begin function _Z15sort_key_kernelILj162ELj2ELb1ELb1EjEvPT3_jj
	.globl	_Z15sort_key_kernelILj162ELj2ELb1ELb1EjEvPT3_jj
	.p2align	8
	.type	_Z15sort_key_kernelILj162ELj2ELb1ELb1EjEvPT3_jj,@function
_Z15sort_key_kernelILj162ELj2ELb1ELb1EjEvPT3_jj: ; @_Z15sort_key_kernelILj162ELj2ELb1ELb1EjEvPT3_jj
; %bb.0:
	s_load_dwordx4 s[36:39], s[4:5], 0x0
	s_mul_i32 s0, s6, 0x144
	s_mov_b32 s1, 0
	s_lshl_b64 s[0:1], s[0:1], 2
	v_lshlrev_b32_e32 v1, 3, v0
	s_waitcnt lgkmcnt(0)
	s_add_u32 s40, s36, s0
	s_addc_u32 s41, s37, s1
	global_load_dwordx2 v[1:2], v1, s[40:41]
	v_mbcnt_lo_u32_b32 v3, -1, 0
	v_mbcnt_hi_u32_b32 v3, -1, v3
	s_cmp_eq_u32 s38, 0
	v_and_b32_e32 v4, 0xc0, v0
	v_subrev_co_u32_e64 v8, s[6:7], 1, v3
	v_and_b32_e32 v9, 64, v3
	s_cselect_b64 s[26:27], -1, 0
	s_cmp_eq_u32 s39, 32
	s_movk_i32 s8, 0xffe4
	v_lshlrev_b32_e32 v12, 5, v0
	v_lshrrev_b32_e32 v5, 4, v0
	v_min_u32_e32 v4, 0x62, v4
	v_cmp_lt_i32_e32 vcc, v8, v9
	s_cselect_b64 s[28:29], -1, 0
	v_lshlrev_b32_e32 v11, 2, v0
	v_and_b32_e32 v6, 15, v3
	v_and_b32_e32 v7, 16, v3
	v_cmp_lt_u32_e64 s[4:5], 31, v3
	v_and_b32_e32 v13, 12, v5
	v_mad_i32_i24 v14, v0, s8, v12
	v_and_b32_e32 v5, 3, v3
	v_add_u32_e32 v4, 63, v4
	v_cndmask_b32_e32 v3, v8, v3, vcc
	s_and_b64 s[26:27], s[26:27], s[28:29]
	s_movk_i32 s33, 0x144
	s_mov_b64 s[24:25], -1
	v_cmp_gt_u32_e64 s[0:1], 3, v0
	v_cmp_lt_u32_e64 s[2:3], 63, v0
	v_cmp_eq_u32_e64 s[8:9], 0, v6
	v_cmp_lt_u32_e64 s[10:11], 1, v6
	v_cmp_lt_u32_e64 s[12:13], 3, v6
	;; [unrolled: 1-line block ×3, first 2 shown]
	v_cmp_eq_u32_e64 s[16:17], 0, v7
	v_cmp_eq_u32_e64 s[18:19], 0, v5
	v_cmp_lt_u32_e64 s[20:21], 1, v5
	v_add_u32_e32 v15, v14, v11
	v_cmp_eq_u32_e64 s[22:23], v0, v4
	v_lshlrev_b32_e32 v16, 2, v3
	s_and_b64 vcc, exec, s[26:27]
	s_waitcnt vmcnt(0)
	v_not_b32_e32 v9, v1
	v_not_b32_e32 v10, v2
	s_cbranch_vccnz .LBB5_19
; %bb.1:
	s_movk_i32 s24, 0x3cc
	s_movk_i32 s26, 0x32a
	;; [unrolled: 1-line block ×4, first 2 shown]
	v_cmp_gt_u32_e64 s[34:35], s33, v0
	s_movk_i32 s33, 0xa2
	v_cmp_gt_u32_e64 s[24:25], s24, v0
	v_cmp_gt_u32_e64 s[26:27], s26, v0
	;; [unrolled: 1-line block ×5, first 2 shown]
	s_sub_i32 s44, s39, s38
	v_mov_b32_e32 v17, 0
	v_mov_b32_e32 v18, 2
	;; [unrolled: 1-line block ×4, first 2 shown]
	s_branch .LBB5_3
.LBB5_2:                                ;   in Loop: Header=BB5_3 Depth=1
	s_andn2_b64 vcc, exec, s[42:43]
	s_mov_b32 s44, s45
	s_cbranch_vccz .LBB5_18
.LBB5_3:                                ; =>This Inner Loop Header: Depth=1
	v_mov_b32_e32 v19, v2
	v_mov_b32_e32 v20, v1
	ds_write2_b32 v11, v17, v17 offset1:162
	s_and_saveexec_b64 s[42:43], s[24:25]
	s_cbranch_execz .LBB5_10
; %bb.4:                                ;   in Loop: Header=BB5_3 Depth=1
	ds_write_b32 v11, v17 offset:1296
	s_and_b64 exec, exec, s[26:27]
	s_cbranch_execz .LBB5_10
; %bb.5:                                ;   in Loop: Header=BB5_3 Depth=1
	ds_write_b32 v11, v17 offset:1944
	s_and_b64 exec, exec, s[28:29]
	;; [unrolled: 4-line block ×5, first 2 shown]
; %bb.9:                                ;   in Loop: Header=BB5_3 Depth=1
	ds_write_b32 v11, v17 offset:4536
.LBB5_10:                               ;   in Loop: Header=BB5_3 Depth=1
	s_or_b64 exec, exec, s[42:43]
	s_min_u32 s42, s44, 4
	s_lshl_b32 s42, -1, s42
	s_not_b32 s42, s42
	v_lshrrev_b32_e32 v1, s38, v20
	v_and_b32_e32 v1, s42, v1
	v_and_b32_e32 v2, 7, v1
	v_lshrrev_b32_e32 v1, 2, v1
	v_mad_u32_u24 v2, v2, s33, v0
	v_and_b32_e32 v1, 30, v1
	v_lshl_add_u32 v22, v2, 2, v1
	ds_read_u16 v21, v22
	v_lshrrev_b32_e32 v1, s38, v19
	v_and_b32_e32 v1, s42, v1
	s_waitcnt lgkmcnt(0)
	v_add_u16_e32 v2, 1, v21
	ds_write_b16 v22, v2
	v_and_b32_e32 v2, 7, v1
	v_lshrrev_b32_e32 v1, 2, v1
	v_mad_u32_u24 v2, v2, s33, v0
	v_and_b32_e32 v1, 30, v1
	v_lshl_add_u32 v24, v2, 2, v1
	ds_read_u16 v23, v24
	s_waitcnt lgkmcnt(0)
	v_add_u16_e32 v1, 1, v23
	ds_write_b16 v24, v1
	s_waitcnt lgkmcnt(0)
	s_barrier
	ds_read2_b64 v[5:8], v12 offset1:1
	ds_read2_b64 v[1:4], v12 offset0:2 offset1:3
	s_waitcnt lgkmcnt(1)
	v_add_u32_e32 v25, v6, v5
	v_add3_u32 v25, v25, v7, v8
	s_waitcnt lgkmcnt(0)
	v_add3_u32 v25, v25, v1, v2
	v_add3_u32 v4, v25, v3, v4
	s_nop 1
	v_mov_b32_dpp v25, v4 row_shr:1 row_mask:0xf bank_mask:0xf
	v_cndmask_b32_e64 v25, v25, 0, s[8:9]
	v_add_u32_e32 v4, v25, v4
	s_nop 1
	v_mov_b32_dpp v25, v4 row_shr:2 row_mask:0xf bank_mask:0xf
	v_cndmask_b32_e64 v25, 0, v25, s[10:11]
	v_add_u32_e32 v4, v4, v25
	s_nop 1
	v_mov_b32_dpp v25, v4 row_shr:4 row_mask:0xf bank_mask:0xf
	v_cndmask_b32_e64 v25, 0, v25, s[12:13]
	v_add_u32_e32 v4, v4, v25
	s_nop 1
	v_mov_b32_dpp v25, v4 row_shr:8 row_mask:0xf bank_mask:0xf
	v_cndmask_b32_e64 v25, 0, v25, s[14:15]
	v_add_u32_e32 v4, v4, v25
	s_nop 1
	v_mov_b32_dpp v25, v4 row_bcast:15 row_mask:0xf bank_mask:0xf
	v_cndmask_b32_e64 v25, v25, 0, s[16:17]
	v_add_u32_e32 v4, v4, v25
	s_nop 1
	v_mov_b32_dpp v25, v4 row_bcast:31 row_mask:0xf bank_mask:0xf
	v_cndmask_b32_e64 v25, 0, v25, s[4:5]
	v_add_u32_e32 v4, v4, v25
	s_and_saveexec_b64 s[42:43], s[22:23]
; %bb.11:                               ;   in Loop: Header=BB5_3 Depth=1
	ds_write_b32 v13, v4 offset:5184
; %bb.12:                               ;   in Loop: Header=BB5_3 Depth=1
	s_or_b64 exec, exec, s[42:43]
	s_waitcnt lgkmcnt(0)
	s_barrier
	s_and_saveexec_b64 s[42:43], s[0:1]
	s_cbranch_execz .LBB5_14
; %bb.13:                               ;   in Loop: Header=BB5_3 Depth=1
	ds_read_b32 v25, v14 offset:5184
	s_waitcnt lgkmcnt(0)
	s_nop 0
	v_mov_b32_dpp v26, v25 row_shr:1 row_mask:0xf bank_mask:0xf
	v_cndmask_b32_e64 v26, v26, 0, s[18:19]
	v_add_u32_e32 v25, v26, v25
	s_nop 1
	v_mov_b32_dpp v26, v25 row_shr:2 row_mask:0xf bank_mask:0xf
	v_cndmask_b32_e64 v26, 0, v26, s[20:21]
	v_add_u32_e32 v25, v25, v26
	ds_write_b32 v14, v25 offset:5184
.LBB5_14:                               ;   in Loop: Header=BB5_3 Depth=1
	s_or_b64 exec, exec, s[42:43]
	v_mov_b32_e32 v25, 0
	s_waitcnt lgkmcnt(0)
	s_barrier
	s_and_saveexec_b64 s[42:43], s[2:3]
; %bb.15:                               ;   in Loop: Header=BB5_3 Depth=1
	ds_read_b32 v25, v13 offset:5180
; %bb.16:                               ;   in Loop: Header=BB5_3 Depth=1
	s_or_b64 exec, exec, s[42:43]
	s_waitcnt lgkmcnt(0)
	v_add_u32_e32 v4, v25, v4
	ds_bpermute_b32 v4, v16, v4
	ds_read_b32 v26, v17 offset:5192
	s_add_i32 s38, s38, 4
	s_cmp_ge_u32 s38, s39
	s_mov_b64 s[42:43], -1
	s_waitcnt lgkmcnt(1)
	v_cndmask_b32_e64 v4, v4, v25, s[6:7]
	s_waitcnt lgkmcnt(0)
	v_lshl_add_u32 v4, v26, 16, v4
	v_add_u32_e32 v5, v4, v5
	v_add_u32_e32 v6, v5, v6
	;; [unrolled: 1-line block ×7, first 2 shown]
	ds_write2_b64 v12, v[4:5], v[6:7] offset1:1
	ds_write2_b64 v12, v[25:26], v[1:2] offset0:2 offset1:3
	s_waitcnt lgkmcnt(0)
	s_barrier
	ds_read_u16 v1, v22
	ds_read_u16 v2, v24
	v_lshlrev_b32_sdwa v3, v18, v21 dst_sel:DWORD dst_unused:UNUSED_PAD src0_sel:DWORD src1_sel:WORD_0
	v_readfirstlane_b32 s45, v0
	s_waitcnt lgkmcnt(0)
	v_lshl_add_u32 v3, v1, 2, v3
	v_lshlrev_b32_sdwa v1, v18, v23 dst_sel:DWORD dst_unused:UNUSED_PAD src0_sel:DWORD src1_sel:WORD_0
	v_lshl_add_u32 v4, v2, 2, v1
                                        ; implicit-def: $vgpr2
	s_cbranch_scc1 .LBB5_2
; %bb.17:                               ;   in Loop: Header=BB5_3 Depth=1
	s_barrier
	ds_write_b32 v3, v20
	ds_write_b32 v4, v19
	s_waitcnt lgkmcnt(0)
	s_barrier
	ds_read_b64 v[1:2], v15
	s_add_i32 s45, s44, -4
	s_mov_b64 s[42:43], 0
	s_waitcnt lgkmcnt(0)
	s_barrier
	s_branch .LBB5_2
.LBB5_18:
	s_mov_b64 s[24:25], 0
	s_barrier
	ds_write_b32 v3, v20
	ds_write_b32 v4, v19
	s_waitcnt lgkmcnt(0)
	s_barrier
.LBB5_19:
	s_and_b64 vcc, exec, s[24:25]
	s_cbranch_vccz .LBB5_38
; %bb.20:
	s_movk_i32 s33, 0x144
	v_sub_u32_e32 v1, 0, v11
	s_movk_i32 s24, 0x3cc
	s_movk_i32 s26, 0x32a
	;; [unrolled: 1-line block ×4, first 2 shown]
	v_cmp_gt_u32_e64 s[34:35], s33, v0
	s_movk_i32 s33, 0xa2
	v_cmp_gt_u32_e64 s[24:25], s24, v0
	v_cmp_gt_u32_e64 s[26:27], s26, v0
	;; [unrolled: 1-line block ×5, first 2 shown]
	v_mov_b32_e32 v18, 0
	v_add_u32_e32 v19, v15, v1
	v_mov_b32_e32 v20, 0
	s_branch .LBB5_22
.LBB5_21:                               ;   in Loop: Header=BB5_22 Depth=1
	s_andn2_b64 vcc, exec, s[38:39]
	s_cbranch_vccz .LBB5_37
.LBB5_22:                               ; =>This Inner Loop Header: Depth=1
	v_mov_b32_e32 v17, v10
	v_mov_b32_e32 v21, v9
	ds_write2_b32 v19, v18, v18 offset1:162
	s_and_saveexec_b64 s[38:39], s[24:25]
	s_cbranch_execz .LBB5_29
; %bb.23:                               ;   in Loop: Header=BB5_22 Depth=1
	ds_write_b32 v19, v18 offset:1296
	s_and_b64 exec, exec, s[26:27]
	s_cbranch_execz .LBB5_29
; %bb.24:                               ;   in Loop: Header=BB5_22 Depth=1
	ds_write_b32 v19, v18 offset:1944
	s_and_b64 exec, exec, s[28:29]
	;; [unrolled: 4-line block ×5, first 2 shown]
; %bb.28:                               ;   in Loop: Header=BB5_22 Depth=1
	ds_write_b32 v19, v18 offset:4536
.LBB5_29:                               ;   in Loop: Header=BB5_22 Depth=1
	s_or_b64 exec, exec, s[38:39]
	v_lshrrev_b32_e32 v1, v20, v21
	v_bfe_u32 v2, v21, v20, 3
	v_lshrrev_b32_e32 v1, 2, v1
	v_mad_u32_u24 v2, v2, s33, v0
	v_and_b32_e32 v1, 2, v1
	v_lshl_or_b32 v10, v2, 2, v1
	ds_read_u16 v9, v10
	v_lshrrev_b32_e32 v1, v20, v17
	v_bfe_u32 v2, v17, v20, 3
	v_lshrrev_b32_e32 v1, 2, v1
	v_mad_u32_u24 v2, v2, s33, v0
	s_waitcnt lgkmcnt(0)
	v_add_u16_e32 v3, 1, v9
	v_and_b32_e32 v1, 2, v1
	ds_write_b16 v10, v3
	v_lshl_or_b32 v23, v2, 2, v1
	ds_read_u16 v22, v23
	s_waitcnt lgkmcnt(0)
	v_add_u16_e32 v1, 1, v22
	ds_write_b16 v23, v1
	s_waitcnt lgkmcnt(0)
	s_barrier
	ds_read2_b64 v[5:8], v12 offset1:1
	ds_read2_b64 v[1:4], v12 offset0:2 offset1:3
	s_waitcnt lgkmcnt(1)
	v_add_u32_e32 v24, v6, v5
	v_add3_u32 v24, v24, v7, v8
	s_waitcnt lgkmcnt(0)
	v_add3_u32 v24, v24, v1, v2
	v_add3_u32 v4, v24, v3, v4
	s_nop 1
	v_mov_b32_dpp v24, v4 row_shr:1 row_mask:0xf bank_mask:0xf
	v_cndmask_b32_e64 v24, v24, 0, s[8:9]
	v_add_u32_e32 v4, v24, v4
	s_nop 1
	v_mov_b32_dpp v24, v4 row_shr:2 row_mask:0xf bank_mask:0xf
	v_cndmask_b32_e64 v24, 0, v24, s[10:11]
	v_add_u32_e32 v4, v4, v24
	;; [unrolled: 4-line block ×4, first 2 shown]
	s_nop 1
	v_mov_b32_dpp v24, v4 row_bcast:15 row_mask:0xf bank_mask:0xf
	v_cndmask_b32_e64 v24, v24, 0, s[16:17]
	v_add_u32_e32 v4, v4, v24
	s_nop 1
	v_mov_b32_dpp v24, v4 row_bcast:31 row_mask:0xf bank_mask:0xf
	v_cndmask_b32_e64 v24, 0, v24, s[4:5]
	v_add_u32_e32 v4, v4, v24
	s_and_saveexec_b64 s[38:39], s[22:23]
; %bb.30:                               ;   in Loop: Header=BB5_22 Depth=1
	ds_write_b32 v13, v4 offset:5184
; %bb.31:                               ;   in Loop: Header=BB5_22 Depth=1
	s_or_b64 exec, exec, s[38:39]
	s_waitcnt lgkmcnt(0)
	s_barrier
	s_and_saveexec_b64 s[38:39], s[0:1]
	s_cbranch_execz .LBB5_33
; %bb.32:                               ;   in Loop: Header=BB5_22 Depth=1
	ds_read_b32 v24, v14 offset:5184
	s_waitcnt lgkmcnt(0)
	s_nop 0
	v_mov_b32_dpp v25, v24 row_shr:1 row_mask:0xf bank_mask:0xf
	v_cndmask_b32_e64 v25, v25, 0, s[18:19]
	v_add_u32_e32 v24, v25, v24
	s_nop 1
	v_mov_b32_dpp v25, v24 row_shr:2 row_mask:0xf bank_mask:0xf
	v_cndmask_b32_e64 v25, 0, v25, s[20:21]
	v_add_u32_e32 v24, v24, v25
	ds_write_b32 v14, v24 offset:5184
.LBB5_33:                               ;   in Loop: Header=BB5_22 Depth=1
	s_or_b64 exec, exec, s[38:39]
	v_mov_b32_e32 v24, 0
	s_waitcnt lgkmcnt(0)
	s_barrier
	s_and_saveexec_b64 s[38:39], s[2:3]
; %bb.34:                               ;   in Loop: Header=BB5_22 Depth=1
	ds_read_b32 v24, v13 offset:5180
; %bb.35:                               ;   in Loop: Header=BB5_22 Depth=1
	s_or_b64 exec, exec, s[38:39]
	s_waitcnt lgkmcnt(0)
	v_add_u32_e32 v4, v24, v4
	ds_bpermute_b32 v4, v16, v4
	ds_read_b32 v25, v18 offset:5192
	v_cmp_lt_u32_e32 vcc, 27, v20
	s_and_b64 vcc, exec, vcc
	s_mov_b64 s[38:39], -1
	s_waitcnt lgkmcnt(1)
	v_cndmask_b32_e64 v4, v4, v24, s[6:7]
	s_waitcnt lgkmcnt(0)
	v_lshl_add_u32 v4, v25, 16, v4
	v_add_u32_e32 v5, v4, v5
	v_add_u32_e32 v6, v5, v6
	;; [unrolled: 1-line block ×7, first 2 shown]
	ds_write2_b64 v12, v[4:5], v[6:7] offset1:1
	ds_write2_b64 v12, v[24:25], v[1:2] offset0:2 offset1:3
	s_waitcnt lgkmcnt(0)
	s_barrier
	ds_read_u16 v1, v10
	ds_read_u16 v3, v23
	s_waitcnt lgkmcnt(1)
	v_add_u32_sdwa v2, v1, v9 dst_sel:DWORD dst_unused:UNUSED_PAD src0_sel:DWORD src1_sel:WORD_0
	s_waitcnt lgkmcnt(0)
	v_add_u32_sdwa v1, v3, v22 dst_sel:DWORD dst_unused:UNUSED_PAD src0_sel:DWORD src1_sel:WORD_0
                                        ; implicit-def: $vgpr10
	s_cbranch_vccnz .LBB5_21
; %bb.36:                               ;   in Loop: Header=BB5_22 Depth=1
	v_lshlrev_b32_e32 v3, 2, v2
	s_barrier
	ds_write_b32 v3, v21
	v_lshlrev_b32_e32 v3, 2, v1
	ds_write_b32 v3, v17
	s_waitcnt lgkmcnt(0)
	s_barrier
	ds_read_b64 v[9:10], v15
	v_add_u32_e32 v20, 4, v20
	s_mov_b64 s[38:39], 0
	s_waitcnt lgkmcnt(0)
	s_barrier
	s_branch .LBB5_21
.LBB5_37:
	v_lshlrev_b32_e32 v0, 2, v2
	s_barrier
	ds_write_b32 v0, v21
	v_lshlrev_b32_e32 v0, 2, v1
	ds_write_b32 v0, v17
	s_waitcnt lgkmcnt(0)
	s_barrier
.LBB5_38:
	ds_read2_b32 v[0:1], v11 offset1:162
	s_waitcnt lgkmcnt(0)
	v_not_b32_e32 v0, v0
	v_not_b32_e32 v1, v1
	global_store_dword v11, v0, s[40:41]
	global_store_dword v11, v1, s[40:41] offset:648
	s_endpgm
	.section	.rodata,"a",@progbits
	.p2align	6, 0x0
	.amdhsa_kernel _Z15sort_key_kernelILj162ELj2ELb1ELb1EjEvPT3_jj
		.amdhsa_group_segment_fixed_size 5200
		.amdhsa_private_segment_fixed_size 0
		.amdhsa_kernarg_size 16
		.amdhsa_user_sgpr_count 6
		.amdhsa_user_sgpr_private_segment_buffer 1
		.amdhsa_user_sgpr_dispatch_ptr 0
		.amdhsa_user_sgpr_queue_ptr 0
		.amdhsa_user_sgpr_kernarg_segment_ptr 1
		.amdhsa_user_sgpr_dispatch_id 0
		.amdhsa_user_sgpr_flat_scratch_init 0
		.amdhsa_user_sgpr_private_segment_size 0
		.amdhsa_uses_dynamic_stack 0
		.amdhsa_system_sgpr_private_segment_wavefront_offset 0
		.amdhsa_system_sgpr_workgroup_id_x 1
		.amdhsa_system_sgpr_workgroup_id_y 0
		.amdhsa_system_sgpr_workgroup_id_z 0
		.amdhsa_system_sgpr_workgroup_info 0
		.amdhsa_system_vgpr_workitem_id 0
		.amdhsa_next_free_vgpr 27
		.amdhsa_next_free_sgpr 61
		.amdhsa_reserve_vcc 1
		.amdhsa_reserve_flat_scratch 0
		.amdhsa_float_round_mode_32 0
		.amdhsa_float_round_mode_16_64 0
		.amdhsa_float_denorm_mode_32 3
		.amdhsa_float_denorm_mode_16_64 3
		.amdhsa_dx10_clamp 1
		.amdhsa_ieee_mode 1
		.amdhsa_fp16_overflow 0
		.amdhsa_exception_fp_ieee_invalid_op 0
		.amdhsa_exception_fp_denorm_src 0
		.amdhsa_exception_fp_ieee_div_zero 0
		.amdhsa_exception_fp_ieee_overflow 0
		.amdhsa_exception_fp_ieee_underflow 0
		.amdhsa_exception_fp_ieee_inexact 0
		.amdhsa_exception_int_div_zero 0
	.end_amdhsa_kernel
	.section	.text._Z15sort_key_kernelILj162ELj2ELb1ELb1EjEvPT3_jj,"axG",@progbits,_Z15sort_key_kernelILj162ELj2ELb1ELb1EjEvPT3_jj,comdat
.Lfunc_end5:
	.size	_Z15sort_key_kernelILj162ELj2ELb1ELb1EjEvPT3_jj, .Lfunc_end5-_Z15sort_key_kernelILj162ELj2ELb1ELb1EjEvPT3_jj
                                        ; -- End function
	.set _Z15sort_key_kernelILj162ELj2ELb1ELb1EjEvPT3_jj.num_vgpr, 27
	.set _Z15sort_key_kernelILj162ELj2ELb1ELb1EjEvPT3_jj.num_agpr, 0
	.set _Z15sort_key_kernelILj162ELj2ELb1ELb1EjEvPT3_jj.numbered_sgpr, 46
	.set _Z15sort_key_kernelILj162ELj2ELb1ELb1EjEvPT3_jj.num_named_barrier, 0
	.set _Z15sort_key_kernelILj162ELj2ELb1ELb1EjEvPT3_jj.private_seg_size, 0
	.set _Z15sort_key_kernelILj162ELj2ELb1ELb1EjEvPT3_jj.uses_vcc, 1
	.set _Z15sort_key_kernelILj162ELj2ELb1ELb1EjEvPT3_jj.uses_flat_scratch, 0
	.set _Z15sort_key_kernelILj162ELj2ELb1ELb1EjEvPT3_jj.has_dyn_sized_stack, 0
	.set _Z15sort_key_kernelILj162ELj2ELb1ELb1EjEvPT3_jj.has_recursion, 0
	.set _Z15sort_key_kernelILj162ELj2ELb1ELb1EjEvPT3_jj.has_indirect_call, 0
	.section	.AMDGPU.csdata,"",@progbits
; Kernel info:
; codeLenInByte = 2204
; TotalNumSgprs: 50
; NumVgprs: 27
; ScratchSize: 0
; MemoryBound: 0
; FloatMode: 240
; IeeeMode: 1
; LDSByteSize: 5200 bytes/workgroup (compile time only)
; SGPRBlocks: 8
; VGPRBlocks: 6
; NumSGPRsForWavesPerEU: 65
; NumVGPRsForWavesPerEU: 27
; Occupancy: 9
; WaveLimiterHint : 1
; COMPUTE_PGM_RSRC2:SCRATCH_EN: 0
; COMPUTE_PGM_RSRC2:USER_SGPR: 6
; COMPUTE_PGM_RSRC2:TRAP_HANDLER: 0
; COMPUTE_PGM_RSRC2:TGID_X_EN: 1
; COMPUTE_PGM_RSRC2:TGID_Y_EN: 0
; COMPUTE_PGM_RSRC2:TGID_Z_EN: 0
; COMPUTE_PGM_RSRC2:TIDIG_COMP_CNT: 0
	.section	.text._Z15sort_key_kernelILj102ELj3ELb0ELb1EtEvPT3_jj,"axG",@progbits,_Z15sort_key_kernelILj102ELj3ELb0ELb1EtEvPT3_jj,comdat
	.protected	_Z15sort_key_kernelILj102ELj3ELb0ELb1EtEvPT3_jj ; -- Begin function _Z15sort_key_kernelILj102ELj3ELb0ELb1EtEvPT3_jj
	.globl	_Z15sort_key_kernelILj102ELj3ELb0ELb1EtEvPT3_jj
	.p2align	8
	.type	_Z15sort_key_kernelILj102ELj3ELb0ELb1EtEvPT3_jj,@function
_Z15sort_key_kernelILj102ELj3ELb0ELb1EtEvPT3_jj: ; @_Z15sort_key_kernelILj102ELj3ELb0ELb1EtEvPT3_jj
; %bb.0:
	s_load_dwordx4 s[40:43], s[4:5], 0x0
	s_mul_i32 s0, s6, 0x132
	s_mov_b32 s1, 0
	s_lshl_b64 s[0:1], s[0:1], 1
	v_mul_u32_u24_e32 v1, 3, v0
	s_waitcnt lgkmcnt(0)
	s_add_u32 s26, s40, s0
	s_addc_u32 s27, s41, s1
	v_lshlrev_b32_e32 v1, 1, v1
	global_load_dword v2, v1, s[26:27]
	global_load_ushort v3, v1, s[26:27] offset:4
	v_mbcnt_lo_u32_b32 v4, -1, 0
	s_movk_i32 s0, 0x330
	v_mbcnt_hi_u32_b32 v4, -1, v4
	v_cmp_gt_u32_e64 s[22:23], s0, v0
	v_subrev_co_u32_e64 v9, s[0:1], 1, v4
	v_and_b32_e32 v10, 64, v4
	v_lshrrev_b32_e32 v6, 4, v0
	v_cmp_lt_i32_e32 vcc, v9, v10
	v_and_b32_e32 v7, 15, v4
	v_and_b32_e32 v8, 16, v4
	v_cmp_lt_u32_e64 s[8:9], 31, v4
	v_and_b32_e32 v13, 4, v6
	v_and_b32_e32 v6, 1, v4
	v_cndmask_b32_e32 v4, v9, v4, vcc
	s_cmp_eq_u32 s42, 0
	v_and_b32_e32 v5, 64, v0
	v_lshlrev_b32_e32 v14, 2, v4
	v_mov_b32_e32 v4, s27
	v_add_co_u32_e32 v9, vcc, s26, v1
	s_cselect_b64 s[26:27], -1, 0
	s_cmp_eq_u32 s43, 16
	s_movk_i32 s6, 0xffe4
	v_lshlrev_b32_e32 v11, 5, v0
	v_min_u32_e32 v5, 38, v5
	s_cselect_b64 s[28:29], -1, 0
	v_lshlrev_b32_e32 v20, 1, v0
	v_mad_i32_i24 v15, v0, s6, v11
	v_add_u32_e32 v5, 63, v5
	v_addc_co_u32_e32 v10, vcc, 0, v4, vcc
	s_and_b64 s[26:27], s[26:27], s[28:29]
	s_movk_i32 s33, 0x132
	v_mov_b32_e32 v19, 0
	s_mov_b64 s[24:25], -1
	v_cmp_gt_u32_e64 s[4:5], 2, v0
	v_cmp_lt_u32_e64 s[2:3], 63, v0
	v_lshlrev_b32_e32 v16, 2, v0
	v_cmp_eq_u32_e64 s[20:21], 0, v7
	v_cmp_lt_u32_e64 s[18:19], 1, v7
	v_cmp_lt_u32_e64 s[16:17], 3, v7
	v_cmp_lt_u32_e64 s[14:15], 7, v7
	v_cmp_eq_u32_e64 s[10:11], 0, v8
	v_cmp_eq_u32_e64 s[6:7], 0, v6
	v_add_u32_e32 v12, v15, v20
	v_cmp_eq_u32_e64 s[12:13], v0, v5
	s_and_b64 vcc, exec, s[26:27]
	s_waitcnt vmcnt(1)
	v_xor_b32_e32 v18, -1, v2
	s_waitcnt vmcnt(0)
	v_xor_b32_e32 v17, -1, v3
	s_cbranch_vccnz .LBB6_21
; %bb.1:
	v_cmp_gt_u32_e64 s[34:35], s33, v0
	s_movk_i32 s33, 0xcc
	s_movk_i32 s24, 0x2ca
	;; [unrolled: 1-line block ×5, first 2 shown]
	v_cmp_gt_u32_e64 s[36:37], s33, v0
	s_movk_i32 s33, 0x66
	v_cmp_gt_u32_e64 s[24:25], s24, v0
	v_cmp_gt_u32_e64 s[26:27], s26, v0
	;; [unrolled: 1-line block ×5, first 2 shown]
	s_sub_i32 s44, s43, s42
	v_mov_b32_e32 v21, 1
	v_mov_b32_e32 v23, v18
	;; [unrolled: 1-line block ×3, first 2 shown]
	s_branch .LBB6_3
.LBB6_2:                                ;   in Loop: Header=BB6_3 Depth=1
	s_andn2_b64 vcc, exec, s[40:41]
	s_cbranch_vccz .LBB6_20
.LBB6_3:                                ; =>This Inner Loop Header: Depth=1
	v_mov_b32_e32 v22, v5
	s_and_saveexec_b64 s[40:41], s[22:23]
	s_cbranch_execz .LBB6_12
; %bb.4:                                ;   in Loop: Header=BB6_3 Depth=1
	ds_write_b32 v16, v19
	s_and_b64 exec, exec, s[24:25]
	s_cbranch_execz .LBB6_12
; %bb.5:                                ;   in Loop: Header=BB6_3 Depth=1
	ds_write_b32 v16, v19 offset:408
	s_and_b64 exec, exec, s[26:27]
	s_cbranch_execz .LBB6_12
; %bb.6:                                ;   in Loop: Header=BB6_3 Depth=1
	ds_write_b32 v16, v19 offset:816
	s_and_b64 exec, exec, s[28:29]
	s_cbranch_execz .LBB6_12
; %bb.7:                                ;   in Loop: Header=BB6_3 Depth=1
	ds_write_b32 v16, v19 offset:1224
	s_and_b64 exec, exec, s[30:31]
	s_cbranch_execz .LBB6_12
; %bb.8:                                ;   in Loop: Header=BB6_3 Depth=1
	ds_write_b32 v16, v19 offset:1632
	s_and_b64 exec, exec, s[34:35]
	s_cbranch_execz .LBB6_12
; %bb.9:                                ;   in Loop: Header=BB6_3 Depth=1
	ds_write_b32 v16, v19 offset:2040
	s_and_b64 exec, exec, s[36:37]
	s_cbranch_execz .LBB6_12
; %bb.10:                               ;   in Loop: Header=BB6_3 Depth=1
	ds_write_b32 v16, v19 offset:2448
	s_and_b64 exec, exec, s[38:39]
; %bb.11:                               ;   in Loop: Header=BB6_3 Depth=1
	ds_write_b32 v16, v19 offset:2856
.LBB6_12:                               ;   in Loop: Header=BB6_3 Depth=1
	s_or_b64 exec, exec, s[40:41]
	s_min_u32 s40, s44, 4
	s_lshl_b32 s40, -1, s40
	s_not_b32 s40, s40
	v_lshrrev_b32_sdwa v1, s42, v23 dst_sel:DWORD dst_unused:UNUSED_PAD src0_sel:DWORD src1_sel:WORD_0
	v_and_b32_e32 v1, s40, v1
	v_and_b32_e32 v2, 7, v1
	v_lshrrev_b32_e32 v1, 2, v1
	v_mad_u32_u24 v2, v2, s33, v0
	v_and_b32_e32 v1, 30, v1
	v_lshl_add_u32 v26, v2, 2, v1
	ds_read_u16 v25, v26
	v_lshrrev_b32_e32 v24, 16, v23
	s_waitcnt lgkmcnt(0)
	v_add_u16_e32 v1, 1, v25
	ds_write_b16 v26, v1
	v_lshrrev_b32_e32 v1, s42, v24
	v_and_b32_e32 v1, s40, v1
	v_and_b32_e32 v2, 7, v1
	v_lshrrev_b32_e32 v1, 2, v1
	v_mad_u32_u24 v2, v2, s33, v0
	v_and_b32_e32 v1, 30, v1
	v_lshl_add_u32 v28, v2, 2, v1
	ds_read_u16 v27, v28
	s_waitcnt lgkmcnt(0)
	v_add_u16_e32 v1, 1, v27
	ds_write_b16 v28, v1
	v_lshrrev_b32_sdwa v1, s42, v22 dst_sel:DWORD dst_unused:UNUSED_PAD src0_sel:DWORD src1_sel:WORD_0
	v_and_b32_e32 v1, s40, v1
	v_and_b32_e32 v2, 7, v1
	v_lshrrev_b32_e32 v1, 2, v1
	v_mad_u32_u24 v2, v2, s33, v0
	v_and_b32_e32 v1, 30, v1
	v_lshl_add_u32 v30, v2, 2, v1
	ds_read_u16 v29, v30
	s_waitcnt lgkmcnt(0)
	v_add_u16_e32 v1, 1, v29
	ds_write_b16 v30, v1
	s_waitcnt lgkmcnt(0)
	s_barrier
	ds_read2_b64 v[5:8], v11 offset1:1
	ds_read2_b64 v[1:4], v11 offset0:2 offset1:3
	s_waitcnt lgkmcnt(1)
	v_add_u32_e32 v31, v6, v5
	v_add3_u32 v31, v31, v7, v8
	s_waitcnt lgkmcnt(0)
	v_add3_u32 v31, v31, v1, v2
	v_add3_u32 v4, v31, v3, v4
	s_nop 1
	v_mov_b32_dpp v31, v4 row_shr:1 row_mask:0xf bank_mask:0xf
	v_cndmask_b32_e64 v31, v31, 0, s[20:21]
	v_add_u32_e32 v4, v31, v4
	s_nop 1
	v_mov_b32_dpp v31, v4 row_shr:2 row_mask:0xf bank_mask:0xf
	v_cndmask_b32_e64 v31, 0, v31, s[18:19]
	v_add_u32_e32 v4, v4, v31
	;; [unrolled: 4-line block ×4, first 2 shown]
	s_nop 1
	v_mov_b32_dpp v31, v4 row_bcast:15 row_mask:0xf bank_mask:0xf
	v_cndmask_b32_e64 v31, v31, 0, s[10:11]
	v_add_u32_e32 v4, v4, v31
	s_nop 1
	v_mov_b32_dpp v31, v4 row_bcast:31 row_mask:0xf bank_mask:0xf
	v_cndmask_b32_e64 v31, 0, v31, s[8:9]
	v_add_u32_e32 v4, v4, v31
	s_and_saveexec_b64 s[40:41], s[12:13]
; %bb.13:                               ;   in Loop: Header=BB6_3 Depth=1
	ds_write_b32 v13, v4 offset:3264
; %bb.14:                               ;   in Loop: Header=BB6_3 Depth=1
	s_or_b64 exec, exec, s[40:41]
	s_waitcnt lgkmcnt(0)
	s_barrier
	s_and_saveexec_b64 s[40:41], s[4:5]
	s_cbranch_execz .LBB6_16
; %bb.15:                               ;   in Loop: Header=BB6_3 Depth=1
	ds_read_b32 v31, v15 offset:3264
	s_waitcnt lgkmcnt(0)
	s_nop 0
	v_mov_b32_dpp v32, v31 row_shr:1 row_mask:0xf bank_mask:0xf
	v_cndmask_b32_e64 v32, v32, 0, s[6:7]
	v_add_u32_e32 v31, v32, v31
	ds_write_b32 v15, v31 offset:3264
.LBB6_16:                               ;   in Loop: Header=BB6_3 Depth=1
	s_or_b64 exec, exec, s[40:41]
	v_mov_b32_e32 v31, 0
	s_waitcnt lgkmcnt(0)
	s_barrier
	s_and_saveexec_b64 s[40:41], s[2:3]
; %bb.17:                               ;   in Loop: Header=BB6_3 Depth=1
	ds_read_b32 v31, v13 offset:3260
; %bb.18:                               ;   in Loop: Header=BB6_3 Depth=1
	s_or_b64 exec, exec, s[40:41]
	s_waitcnt lgkmcnt(0)
	v_add_u32_e32 v4, v31, v4
	ds_bpermute_b32 v32, v14, v4
	ds_read_b32 v33, v19 offset:3268
	s_add_i32 s42, s42, 4
	v_mov_b32_e32 v4, v23
	s_cmp_ge_u32 s42, s43
	s_waitcnt lgkmcnt(1)
	v_cndmask_b32_e64 v31, v32, v31, s[0:1]
	s_waitcnt lgkmcnt(0)
	v_lshl_add_u32 v31, v33, 16, v31
	v_add_u32_e32 v32, v31, v5
	v_add_u32_e32 v5, v32, v6
	;; [unrolled: 1-line block ×7, first 2 shown]
	ds_write2_b64 v11, v[31:32], v[5:6] offset1:1
	ds_write2_b64 v11, v[7:8], v[1:2] offset0:2 offset1:3
	s_waitcnt lgkmcnt(0)
	s_barrier
	ds_read_u16 v1, v26
	ds_read_u16 v2, v28
	;; [unrolled: 1-line block ×3, first 2 shown]
	v_lshlrev_b32_sdwa v5, v21, v25 dst_sel:DWORD dst_unused:UNUSED_PAD src0_sel:DWORD src1_sel:WORD_0
	s_mov_b64 s[40:41], -1
	s_waitcnt lgkmcnt(2)
	v_lshl_add_u32 v1, v1, 1, v5
	v_lshlrev_b32_sdwa v5, v21, v27 dst_sel:DWORD dst_unused:UNUSED_PAD src0_sel:DWORD src1_sel:WORD_0
	s_waitcnt lgkmcnt(1)
	v_lshl_add_u32 v2, v2, 1, v5
	v_lshlrev_b32_sdwa v5, v21, v29 dst_sel:DWORD dst_unused:UNUSED_PAD src0_sel:DWORD src1_sel:WORD_0
	s_waitcnt lgkmcnt(0)
	v_lshl_add_u32 v3, v3, 1, v5
                                        ; implicit-def: $vgpr5
	s_cbranch_scc1 .LBB6_2
; %bb.19:                               ;   in Loop: Header=BB6_3 Depth=1
	s_barrier
	ds_write_b16 v1, v23
	ds_write_b16 v2, v24
	;; [unrolled: 1-line block ×3, first 2 shown]
	s_waitcnt lgkmcnt(0)
	s_barrier
	ds_read_b32 v23, v12
	ds_read_u16 v5, v12 offset:4
	s_add_i32 s44, s44, -4
	s_mov_b64 s[40:41], 0
	s_waitcnt lgkmcnt(0)
	s_barrier
	s_branch .LBB6_2
.LBB6_20:
	s_mov_b64 s[24:25], 0
	s_barrier
	ds_write_b16 v1, v4
	ds_write_b16 v2, v24
	;; [unrolled: 1-line block ×3, first 2 shown]
	s_waitcnt lgkmcnt(0)
	s_barrier
.LBB6_21:
	s_and_b64 vcc, exec, s[24:25]
	s_cbranch_vccz .LBB6_83
; %bb.22:
	s_and_saveexec_b64 s[24:25], s[22:23]
	s_cbranch_execz .LBB6_31
; %bb.23:
	s_movk_i32 s26, 0x2ca
	v_mov_b32_e32 v2, 0
	v_sub_u32_e32 v1, v12, v20
	v_cmp_gt_u32_e32 vcc, s26, v0
	ds_write_b32 v1, v2
	s_and_b64 exec, exec, vcc
	s_cbranch_execz .LBB6_31
; %bb.24:
	v_sub_u32_e32 v1, 0, v20
	s_movk_i32 s26, 0x264
	v_add_u32_e32 v1, v12, v1
	v_cmp_gt_u32_e32 vcc, s26, v0
	ds_write_b32 v1, v2 offset:408
	s_and_b64 exec, exec, vcc
	s_cbranch_execz .LBB6_31
; %bb.25:
	s_movk_i32 s26, 0x1fe
	v_mov_b32_e32 v2, 0
	v_cmp_gt_u32_e32 vcc, s26, v0
	ds_write_b32 v1, v2 offset:816
	s_and_b64 exec, exec, vcc
	s_cbranch_execz .LBB6_31
; %bb.26:
	s_movk_i32 s26, 0x198
	v_cmp_gt_u32_e32 vcc, s26, v0
	ds_write_b32 v1, v2 offset:1224
	s_and_b64 exec, exec, vcc
	s_cbranch_execz .LBB6_31
; %bb.27:
	s_movk_i32 s26, 0x132
	v_mov_b32_e32 v2, 0
	v_cmp_gt_u32_e32 vcc, s26, v0
	ds_write_b32 v1, v2 offset:1632
	s_and_b64 exec, exec, vcc
	s_cbranch_execz .LBB6_31
; %bb.28:
	s_movk_i32 s26, 0xcc
	v_cmp_gt_u32_e32 vcc, s26, v0
	ds_write_b32 v1, v2 offset:2040
	s_and_b64 exec, exec, vcc
	s_cbranch_execz .LBB6_31
; %bb.29:
	s_movk_i32 s26, 0x66
	v_mov_b32_e32 v2, 0
	v_cmp_gt_u32_e32 vcc, s26, v0
	ds_write_b32 v1, v2 offset:2448
	s_and_b64 exec, exec, vcc
; %bb.30:
	ds_write_b32 v1, v2 offset:2856
.LBB6_31:
	s_or_b64 exec, exec, s[24:25]
	v_and_b32_e32 v1, 7, v18
	s_movk_i32 s24, 0x66
	v_lshrrev_b32_e32 v2, 2, v18
	v_mad_u32_u24 v1, v1, s24, v0
	v_and_b32_e32 v2, 2, v2
	v_lshl_or_b32 v20, v1, 2, v2
	ds_read_u16 v19, v20
	v_bfe_u32 v1, v18, 16, 3
	v_mad_u32_u24 v1, v1, s24, v0
	s_waitcnt lgkmcnt(0)
	v_add_u16_e32 v2, 1, v19
	ds_write_b16 v20, v2
	v_lshrrev_b32_e32 v2, 18, v18
	v_and_b32_e32 v2, 2, v2
	v_lshl_or_b32 v23, v1, 2, v2
	ds_read_u16 v21, v23
	v_mov_b32_e32 v2, 2
	v_lshrrev_b32_sdwa v2, v2, v17 dst_sel:DWORD dst_unused:UNUSED_PAD src0_sel:DWORD src1_sel:WORD_0
	v_and_b32_e32 v2, 2, v2
	s_waitcnt lgkmcnt(0)
	v_add_u16_e32 v1, 1, v21
	ds_write_b16 v23, v1
	v_mov_b32_e32 v1, 7
	v_and_b32_sdwa v1, v17, v1 dst_sel:DWORD dst_unused:UNUSED_PAD src0_sel:WORD_0 src1_sel:DWORD
	v_mad_u32_u24 v1, v1, s24, v0
	v_lshl_or_b32 v24, v1, 2, v2
	ds_read_u16 v22, v24
	s_waitcnt lgkmcnt(0)
	v_add_u16_e32 v1, 1, v22
	ds_write_b16 v24, v1
	s_waitcnt lgkmcnt(0)
	s_barrier
	ds_read2_b64 v[5:8], v11 offset1:1
	ds_read2_b64 v[1:4], v11 offset0:2 offset1:3
	s_waitcnt lgkmcnt(1)
	v_add_u32_e32 v25, v6, v5
	v_add3_u32 v25, v25, v7, v8
	s_waitcnt lgkmcnt(0)
	v_add3_u32 v25, v25, v1, v2
	v_add3_u32 v4, v25, v3, v4
	s_nop 1
	v_mov_b32_dpp v25, v4 row_shr:1 row_mask:0xf bank_mask:0xf
	v_cndmask_b32_e64 v25, v25, 0, s[20:21]
	v_add_u32_e32 v4, v25, v4
	s_nop 1
	v_mov_b32_dpp v25, v4 row_shr:2 row_mask:0xf bank_mask:0xf
	v_cndmask_b32_e64 v25, 0, v25, s[18:19]
	v_add_u32_e32 v4, v4, v25
	;; [unrolled: 4-line block ×4, first 2 shown]
	s_nop 1
	v_mov_b32_dpp v25, v4 row_bcast:15 row_mask:0xf bank_mask:0xf
	v_cndmask_b32_e64 v25, v25, 0, s[10:11]
	v_add_u32_e32 v4, v4, v25
	s_nop 1
	v_mov_b32_dpp v25, v4 row_bcast:31 row_mask:0xf bank_mask:0xf
	v_cndmask_b32_e64 v25, 0, v25, s[8:9]
	v_add_u32_e32 v25, v4, v25
	s_and_saveexec_b64 s[24:25], s[12:13]
; %bb.32:
	ds_write_b32 v13, v25 offset:3264
; %bb.33:
	s_or_b64 exec, exec, s[24:25]
	s_waitcnt lgkmcnt(0)
	s_barrier
	s_and_saveexec_b64 s[24:25], s[4:5]
	s_cbranch_execz .LBB6_35
; %bb.34:
	ds_read_b32 v4, v15 offset:3264
	s_waitcnt lgkmcnt(0)
	s_nop 0
	v_mov_b32_dpp v26, v4 row_shr:1 row_mask:0xf bank_mask:0xf
	v_cndmask_b32_e64 v26, v26, 0, s[6:7]
	v_add_u32_e32 v4, v26, v4
	ds_write_b32 v15, v4 offset:3264
.LBB6_35:
	s_or_b64 exec, exec, s[24:25]
	v_lshrrev_b32_e32 v4, 16, v18
	v_mov_b32_e32 v26, 0
	v_mov_b32_e32 v27, 0
	s_waitcnt lgkmcnt(0)
	s_barrier
	s_and_saveexec_b64 s[24:25], s[2:3]
; %bb.36:
	ds_read_b32 v27, v13 offset:3260
; %bb.37:
	s_or_b64 exec, exec, s[24:25]
	s_waitcnt lgkmcnt(0)
	v_add_u32_e32 v25, v27, v25
	ds_bpermute_b32 v25, v14, v25
	ds_read_b32 v26, v26 offset:3268
	s_waitcnt lgkmcnt(1)
	v_cndmask_b32_e64 v25, v25, v27, s[0:1]
	s_waitcnt lgkmcnt(0)
	v_lshl_add_u32 v25, v26, 16, v25
	v_add_u32_e32 v26, v25, v5
	v_add_u32_e32 v5, v26, v6
	;; [unrolled: 1-line block ×7, first 2 shown]
	ds_write2_b64 v11, v[25:26], v[5:6] offset1:1
	ds_write2_b64 v11, v[7:8], v[1:2] offset0:2 offset1:3
	s_waitcnt lgkmcnt(0)
	s_barrier
	ds_read_u16 v1, v20
	ds_read_u16 v2, v23
	;; [unrolled: 1-line block ×3, first 2 shown]
	v_mov_b32_e32 v5, 1
	v_lshlrev_b32_sdwa v6, v5, v19 dst_sel:DWORD dst_unused:UNUSED_PAD src0_sel:DWORD src1_sel:WORD_0
	s_waitcnt lgkmcnt(2)
	v_lshl_add_u32 v1, v1, 1, v6
	s_waitcnt lgkmcnt(0)
	s_barrier
	ds_write_b16 v1, v18
	v_lshlrev_b32_sdwa v1, v5, v21 dst_sel:DWORD dst_unused:UNUSED_PAD src0_sel:DWORD src1_sel:WORD_0
	v_lshl_add_u32 v1, v2, 1, v1
	ds_write_b16 v1, v4
	v_lshlrev_b32_sdwa v1, v5, v22 dst_sel:DWORD dst_unused:UNUSED_PAD src0_sel:DWORD src1_sel:WORD_0
	v_lshl_add_u32 v1, v3, 1, v1
	ds_write_b16 v1, v17
	s_waitcnt lgkmcnt(0)
	s_barrier
	ds_read_u16 v19, v12
	ds_read_u16 v18, v12 offset:2
	ds_read_u16 v17, v12 offset:4
	s_waitcnt lgkmcnt(0)
	s_barrier
	s_and_saveexec_b64 s[24:25], s[22:23]
	s_cbranch_execz .LBB6_46
; %bb.38:
	s_movk_i32 s26, 0x2ca
	v_mov_b32_e32 v1, 0
	v_cmp_gt_u32_e32 vcc, s26, v0
	ds_write_b32 v16, v1
	s_and_b64 exec, exec, vcc
	s_cbranch_execz .LBB6_46
; %bb.39:
	s_movk_i32 s26, 0x264
	v_cmp_gt_u32_e32 vcc, s26, v0
	ds_write_b32 v16, v1 offset:408
	s_and_b64 exec, exec, vcc
	s_cbranch_execz .LBB6_46
; %bb.40:
	s_movk_i32 s26, 0x1fe
	v_mov_b32_e32 v1, 0
	v_cmp_gt_u32_e32 vcc, s26, v0
	ds_write_b32 v16, v1 offset:816
	s_and_b64 exec, exec, vcc
	s_cbranch_execz .LBB6_46
; %bb.41:
	s_movk_i32 s26, 0x198
	v_cmp_gt_u32_e32 vcc, s26, v0
	ds_write_b32 v16, v1 offset:1224
	s_and_b64 exec, exec, vcc
	s_cbranch_execz .LBB6_46
; %bb.42:
	s_movk_i32 s26, 0x132
	v_mov_b32_e32 v1, 0
	v_cmp_gt_u32_e32 vcc, s26, v0
	ds_write_b32 v16, v1 offset:1632
	;; [unrolled: 13-line block ×3, first 2 shown]
	s_and_b64 exec, exec, vcc
; %bb.45:
	ds_write_b32 v16, v1 offset:2856
.LBB6_46:
	s_or_b64 exec, exec, s[24:25]
	v_lshrrev_b16_e32 v1, 4, v19
	v_and_b32_e32 v2, 7, v1
	s_movk_i32 s24, 0x66
	v_lshrrev_b32_e32 v1, 2, v1
	v_mad_u32_u24 v2, v2, s24, v0
	v_and_b32_e32 v1, 2, v1
	v_lshl_or_b32 v21, v2, 2, v1
	ds_read_u16 v20, v21
	v_lshrrev_b16_e32 v1, 4, v18
	s_waitcnt lgkmcnt(0)
	v_add_u16_e32 v2, 1, v20
	ds_write_b16 v21, v2
	v_and_b32_e32 v2, 7, v1
	v_lshrrev_b32_e32 v1, 2, v1
	v_mad_u32_u24 v2, v2, s24, v0
	v_and_b32_e32 v1, 2, v1
	v_lshl_or_b32 v24, v2, 2, v1
	ds_read_u16 v22, v24
	s_waitcnt lgkmcnt(0)
	v_add_u16_e32 v1, 1, v22
	ds_write_b16 v24, v1
	v_lshrrev_b16_e32 v1, 4, v17
	v_and_b32_e32 v2, 7, v1
	v_lshrrev_b32_e32 v1, 2, v1
	v_mad_u32_u24 v2, v2, s24, v0
	v_and_b32_e32 v1, 2, v1
	v_lshl_or_b32 v25, v2, 2, v1
	ds_read_u16 v23, v25
	s_waitcnt lgkmcnt(0)
	v_add_u16_e32 v1, 1, v23
	ds_write_b16 v25, v1
	s_waitcnt lgkmcnt(0)
	s_barrier
	ds_read2_b64 v[5:8], v11 offset1:1
	ds_read2_b64 v[1:4], v11 offset0:2 offset1:3
	s_waitcnt lgkmcnt(1)
	v_add_u32_e32 v26, v6, v5
	v_add3_u32 v26, v26, v7, v8
	s_waitcnt lgkmcnt(0)
	v_add3_u32 v26, v26, v1, v2
	v_add3_u32 v4, v26, v3, v4
	s_nop 1
	v_mov_b32_dpp v26, v4 row_shr:1 row_mask:0xf bank_mask:0xf
	v_cndmask_b32_e64 v26, v26, 0, s[20:21]
	v_add_u32_e32 v4, v26, v4
	s_nop 1
	v_mov_b32_dpp v26, v4 row_shr:2 row_mask:0xf bank_mask:0xf
	v_cndmask_b32_e64 v26, 0, v26, s[18:19]
	v_add_u32_e32 v4, v4, v26
	;; [unrolled: 4-line block ×4, first 2 shown]
	s_nop 1
	v_mov_b32_dpp v26, v4 row_bcast:15 row_mask:0xf bank_mask:0xf
	v_cndmask_b32_e64 v26, v26, 0, s[10:11]
	v_add_u32_e32 v4, v4, v26
	s_nop 1
	v_mov_b32_dpp v26, v4 row_bcast:31 row_mask:0xf bank_mask:0xf
	v_cndmask_b32_e64 v26, 0, v26, s[8:9]
	v_add_u32_e32 v4, v4, v26
	s_and_saveexec_b64 s[24:25], s[12:13]
; %bb.47:
	ds_write_b32 v13, v4 offset:3264
; %bb.48:
	s_or_b64 exec, exec, s[24:25]
	s_waitcnt lgkmcnt(0)
	s_barrier
	s_and_saveexec_b64 s[24:25], s[4:5]
	s_cbranch_execz .LBB6_50
; %bb.49:
	ds_read_b32 v26, v15 offset:3264
	s_waitcnt lgkmcnt(0)
	s_nop 0
	v_mov_b32_dpp v27, v26 row_shr:1 row_mask:0xf bank_mask:0xf
	v_cndmask_b32_e64 v27, v27, 0, s[6:7]
	v_add_u32_e32 v26, v27, v26
	ds_write_b32 v15, v26 offset:3264
.LBB6_50:
	s_or_b64 exec, exec, s[24:25]
	v_mov_b32_e32 v26, 0
	v_mov_b32_e32 v27, 0
	s_waitcnt lgkmcnt(0)
	s_barrier
	s_and_saveexec_b64 s[24:25], s[2:3]
; %bb.51:
	ds_read_b32 v27, v13 offset:3260
; %bb.52:
	s_or_b64 exec, exec, s[24:25]
	s_waitcnt lgkmcnt(0)
	v_add_u32_e32 v4, v27, v4
	ds_bpermute_b32 v4, v14, v4
	ds_read_b32 v26, v26 offset:3268
	s_waitcnt lgkmcnt(1)
	v_cndmask_b32_e64 v4, v4, v27, s[0:1]
	s_waitcnt lgkmcnt(0)
	v_lshl_add_u32 v4, v26, 16, v4
	v_add_u32_e32 v5, v4, v5
	v_add_u32_e32 v6, v5, v6
	;; [unrolled: 1-line block ×7, first 2 shown]
	ds_write2_b64 v11, v[4:5], v[6:7] offset1:1
	ds_write2_b64 v11, v[26:27], v[1:2] offset0:2 offset1:3
	s_waitcnt lgkmcnt(0)
	s_barrier
	ds_read_u16 v1, v21
	ds_read_u16 v2, v24
	;; [unrolled: 1-line block ×3, first 2 shown]
	v_mov_b32_e32 v4, 1
	v_lshlrev_b32_sdwa v5, v4, v20 dst_sel:DWORD dst_unused:UNUSED_PAD src0_sel:DWORD src1_sel:WORD_0
	s_waitcnt lgkmcnt(2)
	v_lshl_add_u32 v1, v1, 1, v5
	s_waitcnt lgkmcnt(0)
	s_barrier
	ds_write_b16 v1, v19
	v_lshlrev_b32_sdwa v1, v4, v22 dst_sel:DWORD dst_unused:UNUSED_PAD src0_sel:DWORD src1_sel:WORD_0
	v_lshl_add_u32 v1, v2, 1, v1
	ds_write_b16 v1, v18
	v_lshlrev_b32_sdwa v1, v4, v23 dst_sel:DWORD dst_unused:UNUSED_PAD src0_sel:DWORD src1_sel:WORD_0
	v_lshl_add_u32 v1, v3, 1, v1
	ds_write_b16 v1, v17
	s_waitcnt lgkmcnt(0)
	s_barrier
	ds_read_u16 v19, v12
	ds_read_u16 v18, v12 offset:2
	ds_read_u16 v17, v12 offset:4
	s_waitcnt lgkmcnt(0)
	s_barrier
	s_and_saveexec_b64 s[24:25], s[22:23]
	s_cbranch_execz .LBB6_61
; %bb.53:
	s_movk_i32 s26, 0x2ca
	v_mov_b32_e32 v1, 0
	v_cmp_gt_u32_e32 vcc, s26, v0
	ds_write_b32 v16, v1
	s_and_b64 exec, exec, vcc
	s_cbranch_execz .LBB6_61
; %bb.54:
	s_movk_i32 s26, 0x264
	v_cmp_gt_u32_e32 vcc, s26, v0
	ds_write_b32 v16, v1 offset:408
	s_and_b64 exec, exec, vcc
	s_cbranch_execz .LBB6_61
; %bb.55:
	s_movk_i32 s26, 0x1fe
	v_mov_b32_e32 v1, 0
	v_cmp_gt_u32_e32 vcc, s26, v0
	ds_write_b32 v16, v1 offset:816
	s_and_b64 exec, exec, vcc
	s_cbranch_execz .LBB6_61
; %bb.56:
	s_movk_i32 s26, 0x198
	v_cmp_gt_u32_e32 vcc, s26, v0
	ds_write_b32 v16, v1 offset:1224
	s_and_b64 exec, exec, vcc
	s_cbranch_execz .LBB6_61
; %bb.57:
	s_movk_i32 s26, 0x132
	v_mov_b32_e32 v1, 0
	v_cmp_gt_u32_e32 vcc, s26, v0
	ds_write_b32 v16, v1 offset:1632
	;; [unrolled: 13-line block ×3, first 2 shown]
	s_and_b64 exec, exec, vcc
; %bb.60:
	ds_write_b32 v16, v1 offset:2856
.LBB6_61:
	s_or_b64 exec, exec, s[24:25]
	v_mov_b32_e32 v1, 7
	v_mov_b32_e32 v3, 2
	v_and_b32_sdwa v2, v19, v1 dst_sel:DWORD dst_unused:UNUSED_PAD src0_sel:BYTE_1 src1_sel:DWORD
	s_movk_i32 s24, 0x66
	v_lshrrev_b32_sdwa v4, v3, v19 dst_sel:DWORD dst_unused:UNUSED_PAD src0_sel:DWORD src1_sel:BYTE_1
	v_mad_u32_u24 v2, v2, s24, v0
	v_and_b32_e32 v4, 2, v4
	v_lshl_or_b32 v22, v2, 2, v4
	ds_read_u16 v20, v22
	v_lshrrev_b32_sdwa v4, v3, v18 dst_sel:DWORD dst_unused:UNUSED_PAD src0_sel:DWORD src1_sel:BYTE_1
	v_and_b32_e32 v4, 2, v4
	s_waitcnt lgkmcnt(0)
	v_add_u16_e32 v2, 1, v20
	ds_write_b16 v22, v2
	v_and_b32_sdwa v2, v18, v1 dst_sel:DWORD dst_unused:UNUSED_PAD src0_sel:BYTE_1 src1_sel:DWORD
	v_mad_u32_u24 v2, v2, s24, v0
	v_lshl_or_b32 v24, v2, 2, v4
	ds_read_u16 v21, v24
	v_and_b32_sdwa v1, v17, v1 dst_sel:DWORD dst_unused:UNUSED_PAD src0_sel:BYTE_1 src1_sel:DWORD
	v_mad_u32_u24 v1, v1, s24, v0
	s_waitcnt lgkmcnt(0)
	v_add_u16_e32 v2, 1, v21
	ds_write_b16 v24, v2
	v_lshrrev_b32_sdwa v2, v3, v17 dst_sel:DWORD dst_unused:UNUSED_PAD src0_sel:DWORD src1_sel:BYTE_1
	v_and_b32_e32 v2, 2, v2
	v_lshl_or_b32 v25, v1, 2, v2
	ds_read_u16 v23, v25
	s_waitcnt lgkmcnt(0)
	v_add_u16_e32 v1, 1, v23
	ds_write_b16 v25, v1
	s_waitcnt lgkmcnt(0)
	s_barrier
	ds_read2_b64 v[5:8], v11 offset1:1
	ds_read2_b64 v[1:4], v11 offset0:2 offset1:3
	s_waitcnt lgkmcnt(1)
	v_add_u32_e32 v26, v6, v5
	v_add3_u32 v26, v26, v7, v8
	s_waitcnt lgkmcnt(0)
	v_add3_u32 v26, v26, v1, v2
	v_add3_u32 v4, v26, v3, v4
	s_nop 1
	v_mov_b32_dpp v26, v4 row_shr:1 row_mask:0xf bank_mask:0xf
	v_cndmask_b32_e64 v26, v26, 0, s[20:21]
	v_add_u32_e32 v4, v26, v4
	s_nop 1
	v_mov_b32_dpp v26, v4 row_shr:2 row_mask:0xf bank_mask:0xf
	v_cndmask_b32_e64 v26, 0, v26, s[18:19]
	v_add_u32_e32 v4, v4, v26
	;; [unrolled: 4-line block ×4, first 2 shown]
	s_nop 1
	v_mov_b32_dpp v26, v4 row_bcast:15 row_mask:0xf bank_mask:0xf
	v_cndmask_b32_e64 v26, v26, 0, s[10:11]
	v_add_u32_e32 v4, v4, v26
	s_nop 1
	v_mov_b32_dpp v26, v4 row_bcast:31 row_mask:0xf bank_mask:0xf
	v_cndmask_b32_e64 v26, 0, v26, s[8:9]
	v_add_u32_e32 v4, v4, v26
	s_and_saveexec_b64 s[24:25], s[12:13]
; %bb.62:
	ds_write_b32 v13, v4 offset:3264
; %bb.63:
	s_or_b64 exec, exec, s[24:25]
	s_waitcnt lgkmcnt(0)
	s_barrier
	s_and_saveexec_b64 s[24:25], s[4:5]
	s_cbranch_execz .LBB6_65
; %bb.64:
	ds_read_b32 v26, v15 offset:3264
	s_waitcnt lgkmcnt(0)
	s_nop 0
	v_mov_b32_dpp v27, v26 row_shr:1 row_mask:0xf bank_mask:0xf
	v_cndmask_b32_e64 v27, v27, 0, s[6:7]
	v_add_u32_e32 v26, v27, v26
	ds_write_b32 v15, v26 offset:3264
.LBB6_65:
	s_or_b64 exec, exec, s[24:25]
	v_mov_b32_e32 v26, 0
	v_mov_b32_e32 v27, 0
	s_waitcnt lgkmcnt(0)
	s_barrier
	s_and_saveexec_b64 s[24:25], s[2:3]
; %bb.66:
	ds_read_b32 v27, v13 offset:3260
; %bb.67:
	s_or_b64 exec, exec, s[24:25]
	s_waitcnt lgkmcnt(0)
	v_add_u32_e32 v4, v27, v4
	ds_bpermute_b32 v4, v14, v4
	ds_read_b32 v26, v26 offset:3268
	s_waitcnt lgkmcnt(1)
	v_cndmask_b32_e64 v4, v4, v27, s[0:1]
	s_waitcnt lgkmcnt(0)
	v_lshl_add_u32 v4, v26, 16, v4
	v_add_u32_e32 v5, v4, v5
	v_add_u32_e32 v6, v5, v6
	;; [unrolled: 1-line block ×7, first 2 shown]
	ds_write2_b64 v11, v[4:5], v[6:7] offset1:1
	ds_write2_b64 v11, v[26:27], v[1:2] offset0:2 offset1:3
	s_waitcnt lgkmcnt(0)
	s_barrier
	ds_read_u16 v1, v22
	ds_read_u16 v2, v24
	;; [unrolled: 1-line block ×3, first 2 shown]
	v_mov_b32_e32 v4, 1
	v_lshlrev_b32_sdwa v5, v4, v20 dst_sel:DWORD dst_unused:UNUSED_PAD src0_sel:DWORD src1_sel:WORD_0
	s_waitcnt lgkmcnt(2)
	v_lshl_add_u32 v1, v1, 1, v5
	s_waitcnt lgkmcnt(0)
	s_barrier
	ds_write_b16 v1, v19
	v_lshlrev_b32_sdwa v1, v4, v21 dst_sel:DWORD dst_unused:UNUSED_PAD src0_sel:DWORD src1_sel:WORD_0
	v_lshl_add_u32 v1, v2, 1, v1
	ds_write_b16 v1, v18
	v_lshlrev_b32_sdwa v1, v4, v23 dst_sel:DWORD dst_unused:UNUSED_PAD src0_sel:DWORD src1_sel:WORD_0
	v_lshl_add_u32 v1, v3, 1, v1
	ds_write_b16 v1, v17
	s_waitcnt lgkmcnt(0)
	s_barrier
	ds_read_u16 v18, v12
	ds_read_u16 v17, v12 offset:2
	ds_read_u16 v8, v12 offset:4
	s_waitcnt lgkmcnt(0)
	s_barrier
	s_and_saveexec_b64 s[24:25], s[22:23]
	s_cbranch_execz .LBB6_76
; %bb.68:
	s_movk_i32 s22, 0x2ca
	v_mov_b32_e32 v1, 0
	v_cmp_gt_u32_e32 vcc, s22, v0
	ds_write_b32 v16, v1
	s_and_b64 exec, exec, vcc
	s_cbranch_execz .LBB6_76
; %bb.69:
	s_movk_i32 s22, 0x264
	v_cmp_gt_u32_e32 vcc, s22, v0
	ds_write_b32 v16, v1 offset:408
	s_and_b64 exec, exec, vcc
	s_cbranch_execz .LBB6_76
; %bb.70:
	s_movk_i32 s22, 0x1fe
	v_mov_b32_e32 v1, 0
	v_cmp_gt_u32_e32 vcc, s22, v0
	ds_write_b32 v16, v1 offset:816
	s_and_b64 exec, exec, vcc
	s_cbranch_execz .LBB6_76
; %bb.71:
	s_movk_i32 s22, 0x198
	v_cmp_gt_u32_e32 vcc, s22, v0
	ds_write_b32 v16, v1 offset:1224
	s_and_b64 exec, exec, vcc
	s_cbranch_execz .LBB6_76
; %bb.72:
	s_movk_i32 s22, 0x132
	v_mov_b32_e32 v1, 0
	v_cmp_gt_u32_e32 vcc, s22, v0
	ds_write_b32 v16, v1 offset:1632
	;; [unrolled: 13-line block ×3, first 2 shown]
	s_and_b64 exec, exec, vcc
; %bb.75:
	ds_write_b32 v16, v1 offset:2856
.LBB6_76:
	s_or_b64 exec, exec, s[24:25]
	v_lshrrev_b16_e32 v1, 12, v18
	v_and_b32_e32 v2, 7, v1
	s_movk_i32 s22, 0x66
	v_lshrrev_b32_e32 v1, 2, v1
	v_mad_u32_u24 v2, v2, s22, v0
	v_and_b32_e32 v1, 2, v1
	v_lshl_or_b32 v19, v2, 2, v1
	ds_read_u16 v16, v19
	v_lshrrev_b16_e32 v1, 12, v17
	s_waitcnt lgkmcnt(0)
	v_add_u16_e32 v2, 1, v16
	ds_write_b16 v19, v2
	v_and_b32_e32 v2, 7, v1
	v_lshrrev_b32_e32 v1, 2, v1
	v_mad_u32_u24 v2, v2, s22, v0
	v_and_b32_e32 v1, 2, v1
	v_lshl_or_b32 v22, v2, 2, v1
	ds_read_u16 v20, v22
	s_waitcnt lgkmcnt(0)
	v_add_u16_e32 v1, 1, v20
	ds_write_b16 v22, v1
	v_lshrrev_b16_e32 v1, 12, v8
	v_and_b32_e32 v2, 7, v1
	v_lshrrev_b32_e32 v1, 2, v1
	v_mad_u32_u24 v0, v2, s22, v0
	v_and_b32_e32 v1, 2, v1
	v_lshl_or_b32 v23, v0, 2, v1
	ds_read_u16 v21, v23
	s_waitcnt lgkmcnt(0)
	v_add_u16_e32 v0, 1, v21
	ds_write_b16 v23, v0
	s_waitcnt lgkmcnt(0)
	s_barrier
	ds_read2_b64 v[4:7], v11 offset1:1
	ds_read2_b64 v[0:3], v11 offset0:2 offset1:3
	s_waitcnt lgkmcnt(1)
	v_add_u32_e32 v24, v5, v4
	v_add3_u32 v24, v24, v6, v7
	s_waitcnt lgkmcnt(0)
	v_add3_u32 v24, v24, v0, v1
	v_add3_u32 v3, v24, v2, v3
	s_nop 1
	v_mov_b32_dpp v24, v3 row_shr:1 row_mask:0xf bank_mask:0xf
	v_cndmask_b32_e64 v24, v24, 0, s[20:21]
	v_add_u32_e32 v3, v24, v3
	s_nop 1
	v_mov_b32_dpp v24, v3 row_shr:2 row_mask:0xf bank_mask:0xf
	v_cndmask_b32_e64 v24, 0, v24, s[18:19]
	v_add_u32_e32 v3, v3, v24
	s_nop 1
	v_mov_b32_dpp v24, v3 row_shr:4 row_mask:0xf bank_mask:0xf
	v_cndmask_b32_e64 v24, 0, v24, s[16:17]
	v_add_u32_e32 v3, v3, v24
	s_nop 1
	v_mov_b32_dpp v24, v3 row_shr:8 row_mask:0xf bank_mask:0xf
	v_cndmask_b32_e64 v24, 0, v24, s[14:15]
	v_add_u32_e32 v3, v3, v24
	s_nop 1
	v_mov_b32_dpp v24, v3 row_bcast:15 row_mask:0xf bank_mask:0xf
	v_cndmask_b32_e64 v24, v24, 0, s[10:11]
	v_add_u32_e32 v3, v3, v24
	s_nop 1
	v_mov_b32_dpp v24, v3 row_bcast:31 row_mask:0xf bank_mask:0xf
	v_cndmask_b32_e64 v24, 0, v24, s[8:9]
	v_add_u32_e32 v3, v3, v24
	s_and_saveexec_b64 s[8:9], s[12:13]
; %bb.77:
	ds_write_b32 v13, v3 offset:3264
; %bb.78:
	s_or_b64 exec, exec, s[8:9]
	s_waitcnt lgkmcnt(0)
	s_barrier
	s_and_saveexec_b64 s[8:9], s[4:5]
	s_cbranch_execz .LBB6_80
; %bb.79:
	ds_read_b32 v24, v15 offset:3264
	s_waitcnt lgkmcnt(0)
	s_nop 0
	v_mov_b32_dpp v25, v24 row_shr:1 row_mask:0xf bank_mask:0xf
	v_cndmask_b32_e64 v25, v25, 0, s[6:7]
	v_add_u32_e32 v24, v25, v24
	ds_write_b32 v15, v24 offset:3264
.LBB6_80:
	s_or_b64 exec, exec, s[8:9]
	v_mov_b32_e32 v15, 0
	v_mov_b32_e32 v24, 0
	s_waitcnt lgkmcnt(0)
	s_barrier
	s_and_saveexec_b64 s[4:5], s[2:3]
; %bb.81:
	ds_read_b32 v24, v13 offset:3260
; %bb.82:
	s_or_b64 exec, exec, s[4:5]
	s_waitcnt lgkmcnt(0)
	v_add_u32_e32 v3, v24, v3
	ds_bpermute_b32 v3, v14, v3
	ds_read_b32 v13, v15 offset:3268
	s_waitcnt lgkmcnt(1)
	v_cndmask_b32_e64 v3, v3, v24, s[0:1]
	s_waitcnt lgkmcnt(0)
	v_lshl_add_u32 v3, v13, 16, v3
	v_add_u32_e32 v4, v3, v4
	v_add_u32_e32 v5, v4, v5
	;; [unrolled: 1-line block ×7, first 2 shown]
	ds_write2_b64 v11, v[3:4], v[5:6] offset1:1
	ds_write2_b64 v11, v[13:14], v[0:1] offset0:2 offset1:3
	s_waitcnt lgkmcnt(0)
	s_barrier
	ds_read_u16 v0, v23
	ds_read_u16 v1, v22
	;; [unrolled: 1-line block ×3, first 2 shown]
	v_mov_b32_e32 v3, 1
	v_lshlrev_b32_sdwa v4, v3, v16 dst_sel:DWORD dst_unused:UNUSED_PAD src0_sel:DWORD src1_sel:WORD_0
	s_waitcnt lgkmcnt(0)
	s_barrier
	v_lshl_add_u32 v2, v2, 1, v4
	ds_write_b16 v2, v18
	v_lshlrev_b32_sdwa v2, v3, v20 dst_sel:DWORD dst_unused:UNUSED_PAD src0_sel:DWORD src1_sel:WORD_0
	v_lshl_add_u32 v1, v1, 1, v2
	ds_write_b16 v1, v17
	v_lshlrev_b32_sdwa v1, v3, v21 dst_sel:DWORD dst_unused:UNUSED_PAD src0_sel:DWORD src1_sel:WORD_0
	v_lshl_add_u32 v0, v0, 1, v1
	ds_write_b16 v0, v8
	s_waitcnt lgkmcnt(0)
	s_barrier
.LBB6_83:
	ds_read_u16 v0, v12 offset:4
	ds_read_b32 v1, v12
	s_waitcnt lgkmcnt(1)
	v_xor_b32_e32 v0, -1, v0
	s_waitcnt lgkmcnt(0)
	v_xor_b32_e32 v1, -1, v1
	global_store_short v[9:10], v0, off offset:4
	global_store_dword v[9:10], v1, off
	s_endpgm
	.section	.rodata,"a",@progbits
	.p2align	6, 0x0
	.amdhsa_kernel _Z15sort_key_kernelILj102ELj3ELb0ELb1EtEvPT3_jj
		.amdhsa_group_segment_fixed_size 3280
		.amdhsa_private_segment_fixed_size 0
		.amdhsa_kernarg_size 16
		.amdhsa_user_sgpr_count 6
		.amdhsa_user_sgpr_private_segment_buffer 1
		.amdhsa_user_sgpr_dispatch_ptr 0
		.amdhsa_user_sgpr_queue_ptr 0
		.amdhsa_user_sgpr_kernarg_segment_ptr 1
		.amdhsa_user_sgpr_dispatch_id 0
		.amdhsa_user_sgpr_flat_scratch_init 0
		.amdhsa_user_sgpr_private_segment_size 0
		.amdhsa_uses_dynamic_stack 0
		.amdhsa_system_sgpr_private_segment_wavefront_offset 0
		.amdhsa_system_sgpr_workgroup_id_x 1
		.amdhsa_system_sgpr_workgroup_id_y 0
		.amdhsa_system_sgpr_workgroup_id_z 0
		.amdhsa_system_sgpr_workgroup_info 0
		.amdhsa_system_vgpr_workitem_id 0
		.amdhsa_next_free_vgpr 34
		.amdhsa_next_free_sgpr 61
		.amdhsa_reserve_vcc 1
		.amdhsa_reserve_flat_scratch 0
		.amdhsa_float_round_mode_32 0
		.amdhsa_float_round_mode_16_64 0
		.amdhsa_float_denorm_mode_32 3
		.amdhsa_float_denorm_mode_16_64 3
		.amdhsa_dx10_clamp 1
		.amdhsa_ieee_mode 1
		.amdhsa_fp16_overflow 0
		.amdhsa_exception_fp_ieee_invalid_op 0
		.amdhsa_exception_fp_denorm_src 0
		.amdhsa_exception_fp_ieee_div_zero 0
		.amdhsa_exception_fp_ieee_overflow 0
		.amdhsa_exception_fp_ieee_underflow 0
		.amdhsa_exception_fp_ieee_inexact 0
		.amdhsa_exception_int_div_zero 0
	.end_amdhsa_kernel
	.section	.text._Z15sort_key_kernelILj102ELj3ELb0ELb1EtEvPT3_jj,"axG",@progbits,_Z15sort_key_kernelILj102ELj3ELb0ELb1EtEvPT3_jj,comdat
.Lfunc_end6:
	.size	_Z15sort_key_kernelILj102ELj3ELb0ELb1EtEvPT3_jj, .Lfunc_end6-_Z15sort_key_kernelILj102ELj3ELb0ELb1EtEvPT3_jj
                                        ; -- End function
	.set _Z15sort_key_kernelILj102ELj3ELb0ELb1EtEvPT3_jj.num_vgpr, 34
	.set _Z15sort_key_kernelILj102ELj3ELb0ELb1EtEvPT3_jj.num_agpr, 0
	.set _Z15sort_key_kernelILj102ELj3ELb0ELb1EtEvPT3_jj.numbered_sgpr, 45
	.set _Z15sort_key_kernelILj102ELj3ELb0ELb1EtEvPT3_jj.num_named_barrier, 0
	.set _Z15sort_key_kernelILj102ELj3ELb0ELb1EtEvPT3_jj.private_seg_size, 0
	.set _Z15sort_key_kernelILj102ELj3ELb0ELb1EtEvPT3_jj.uses_vcc, 1
	.set _Z15sort_key_kernelILj102ELj3ELb0ELb1EtEvPT3_jj.uses_flat_scratch, 0
	.set _Z15sort_key_kernelILj102ELj3ELb0ELb1EtEvPT3_jj.has_dyn_sized_stack, 0
	.set _Z15sort_key_kernelILj102ELj3ELb0ELb1EtEvPT3_jj.has_recursion, 0
	.set _Z15sort_key_kernelILj102ELj3ELb0ELb1EtEvPT3_jj.has_indirect_call, 0
	.section	.AMDGPU.csdata,"",@progbits
; Kernel info:
; codeLenInByte = 5220
; TotalNumSgprs: 49
; NumVgprs: 34
; ScratchSize: 0
; MemoryBound: 0
; FloatMode: 240
; IeeeMode: 1
; LDSByteSize: 3280 bytes/workgroup (compile time only)
; SGPRBlocks: 8
; VGPRBlocks: 8
; NumSGPRsForWavesPerEU: 65
; NumVGPRsForWavesPerEU: 34
; Occupancy: 7
; WaveLimiterHint : 0
; COMPUTE_PGM_RSRC2:SCRATCH_EN: 0
; COMPUTE_PGM_RSRC2:USER_SGPR: 6
; COMPUTE_PGM_RSRC2:TRAP_HANDLER: 0
; COMPUTE_PGM_RSRC2:TGID_X_EN: 1
; COMPUTE_PGM_RSRC2:TGID_Y_EN: 0
; COMPUTE_PGM_RSRC2:TGID_Z_EN: 0
; COMPUTE_PGM_RSRC2:TIDIG_COMP_CNT: 0
	.section	.text._Z15sort_key_kernelILj64ELj1ELb0ELb0EyEvPT3_jj,"axG",@progbits,_Z15sort_key_kernelILj64ELj1ELb0ELb0EyEvPT3_jj,comdat
	.protected	_Z15sort_key_kernelILj64ELj1ELb0ELb0EyEvPT3_jj ; -- Begin function _Z15sort_key_kernelILj64ELj1ELb0ELb0EyEvPT3_jj
	.globl	_Z15sort_key_kernelILj64ELj1ELb0ELb0EyEvPT3_jj
	.p2align	8
	.type	_Z15sort_key_kernelILj64ELj1ELb0ELb0EyEvPT3_jj,@function
_Z15sort_key_kernelILj64ELj1ELb0ELb0EyEvPT3_jj: ; @_Z15sort_key_kernelILj64ELj1ELb0ELb0EyEvPT3_jj
; %bb.0:
	s_load_dwordx4 s[16:19], s[4:5], 0x0
	s_load_dword s7, s[4:5], 0x1c
	s_lshl_b32 s0, s6, 6
	s_mov_b32 s1, 0
	s_lshl_b64 s[0:1], s[0:1], 3
	s_waitcnt lgkmcnt(0)
	s_add_u32 s0, s16, s0
	s_addc_u32 s1, s17, s1
	v_lshlrev_b32_e32 v13, 3, v0
	global_load_dwordx2 v[5:6], v13, s[0:1]
	s_cmp_eq_u32 s18, 0
	v_mov_b32_e32 v4, s1
	v_add_co_u32_e32 v3, vcc, s0, v13
	s_cselect_b64 s[0:1], -1, 0
	s_cmp_eq_u32 s19, 64
	s_cselect_b64 s[2:3], -1, 0
	v_mbcnt_lo_u32_b32 v8, -1, 0
	s_and_b64 s[20:21], s[0:1], s[2:3]
	s_lshr_b32 s0, s7, 16
	v_mbcnt_hi_u32_b32 v8, -1, v8
	s_and_b32 s1, s7, 0xffff
	v_mad_u32_u24 v1, v2, s0, v1
	v_and_b32_e32 v9, 15, v8
	v_addc_co_u32_e32 v4, vcc, 0, v4, vcc
	v_mad_u32_u24 v1, v1, s1, v0
	v_cmp_eq_u32_e64 s[0:1], 0, v9
	v_cmp_lt_u32_e64 s[2:3], 1, v9
	v_cmp_lt_u32_e64 s[4:5], 3, v9
	;; [unrolled: 1-line block ×3, first 2 shown]
	v_and_b32_e32 v9, 16, v8
	v_cmp_eq_u32_e64 s[8:9], 0, v9
	v_subrev_co_u32_e32 v9, vcc, 1, v8
	v_and_b32_e32 v10, 64, v8
	v_cmp_lt_i32_e64 s[14:15], v9, v10
	v_lshlrev_b32_e32 v2, 4, v0
	v_cmp_eq_u32_e64 s[12:13], 63, v0
	v_cndmask_b32_e64 v9, v9, v8, s[14:15]
	v_cmp_eq_u32_e64 s[14:15], 0, v0
	v_lshrrev_b32_e32 v0, 4, v1
	v_mov_b32_e32 v7, 0
	v_cmp_lt_u32_e64 s[10:11], 31, v8
	v_lshlrev_b32_e32 v14, 2, v9
	s_or_b64 s[16:17], s[14:15], vcc
	v_lshlrev_b32_e32 v15, 3, v8
	v_and_b32_e32 v16, 0xffffffc, v0
	s_mov_b64 s[14:15], -1
	s_and_b64 vcc, exec, s[20:21]
	s_cbranch_vccnz .LBB7_10
; %bb.1:
	s_waitcnt vmcnt(0)
	v_mov_b32_e32 v9, v6
	s_sub_i32 s20, s19, s18
	v_mov_b32_e32 v8, v5
	s_branch .LBB7_3
.LBB7_2:                                ;   in Loop: Header=BB7_3 Depth=1
	s_andn2_b64 vcc, exec, s[14:15]
	s_cbranch_vccz .LBB7_9
.LBB7_3:                                ; =>This Inner Loop Header: Depth=1
	v_mov_b32_e32 v0, v8
	v_mov_b32_e32 v1, v9
	v_lshrrev_b64 v[8:9], s18, v[0:1]
	s_min_u32 s14, s20, 8
	v_bfe_u32 v9, v8, 0, s14
	v_and_b32_e32 v8, 1, v9
	v_add_co_u32_e32 v10, vcc, -1, v8
	v_addc_co_u32_e64 v11, s[14:15], 0, -1, vcc
	v_cmp_ne_u32_e32 vcc, 0, v8
	v_xor_b32_e32 v8, vcc_hi, v11
	v_and_b32_e32 v11, exec_hi, v8
	v_lshlrev_b32_e32 v8, 30, v9
	v_xor_b32_e32 v10, vcc_lo, v10
	v_cmp_gt_i64_e32 vcc, 0, v[7:8]
	v_not_b32_e32 v8, v8
	v_ashrrev_i32_e32 v8, 31, v8
	v_and_b32_e32 v10, exec_lo, v10
	v_xor_b32_e32 v17, vcc_hi, v8
	v_xor_b32_e32 v8, vcc_lo, v8
	v_and_b32_e32 v10, v10, v8
	v_lshlrev_b32_e32 v8, 29, v9
	v_cmp_gt_i64_e32 vcc, 0, v[7:8]
	v_not_b32_e32 v8, v8
	v_ashrrev_i32_e32 v8, 31, v8
	v_and_b32_e32 v11, v11, v17
	v_xor_b32_e32 v17, vcc_hi, v8
	v_xor_b32_e32 v8, vcc_lo, v8
	v_and_b32_e32 v10, v10, v8
	v_lshlrev_b32_e32 v8, 28, v9
	v_cmp_gt_i64_e32 vcc, 0, v[7:8]
	v_not_b32_e32 v8, v8
	v_ashrrev_i32_e32 v8, 31, v8
	v_and_b32_e32 v11, v11, v17
	;; [unrolled: 8-line block ×5, first 2 shown]
	v_xor_b32_e32 v17, vcc_hi, v8
	v_xor_b32_e32 v8, vcc_lo, v8
	v_and_b32_e32 v10, v10, v8
	v_lshlrev_b32_e32 v8, 24, v9
	v_cmp_gt_i64_e32 vcc, 0, v[7:8]
	v_not_b32_e32 v8, v8
	v_ashrrev_i32_e32 v8, 31, v8
	v_lshl_add_u32 v12, v9, 2, v16
	v_xor_b32_e32 v9, vcc_hi, v8
	v_xor_b32_e32 v8, vcc_lo, v8
	v_and_b32_e32 v11, v11, v17
	v_and_b32_e32 v8, v10, v8
	v_and_b32_e32 v9, v11, v9
	v_mbcnt_lo_u32_b32 v10, v8, 0
	v_mbcnt_hi_u32_b32 v17, v9, v10
	v_cmp_ne_u64_e32 vcc, 0, v[8:9]
	v_cmp_eq_u32_e64 s[14:15], 0, v17
	s_and_b64 s[22:23], vcc, s[14:15]
	ds_write2_b32 v2, v7, v7 offset0:1 offset1:2
	ds_write2_b32 v2, v7, v7 offset0:3 offset1:4
	s_waitcnt lgkmcnt(0)
	; wave barrier
	; wave barrier
	s_and_saveexec_b64 s[14:15], s[22:23]
; %bb.4:                                ;   in Loop: Header=BB7_3 Depth=1
	v_bcnt_u32_b32 v8, v8, 0
	v_bcnt_u32_b32 v8, v9, v8
	ds_write_b32 v12, v8 offset:4
; %bb.5:                                ;   in Loop: Header=BB7_3 Depth=1
	s_or_b64 exec, exec, s[14:15]
	; wave barrier
	s_waitcnt lgkmcnt(0)
	; wave barrier
	ds_read2_b32 v[10:11], v2 offset0:1 offset1:2
	ds_read2_b32 v[8:9], v2 offset0:3 offset1:4
	s_waitcnt lgkmcnt(1)
	v_add_u32_e32 v18, v11, v10
	s_waitcnt lgkmcnt(0)
	v_add3_u32 v9, v18, v8, v9
	s_nop 1
	v_mov_b32_dpp v18, v9 row_shr:1 row_mask:0xf bank_mask:0xf
	v_cndmask_b32_e64 v18, v18, 0, s[0:1]
	v_add_u32_e32 v9, v18, v9
	s_nop 1
	v_mov_b32_dpp v18, v9 row_shr:2 row_mask:0xf bank_mask:0xf
	v_cndmask_b32_e64 v18, 0, v18, s[2:3]
	v_add_u32_e32 v9, v9, v18
	;; [unrolled: 4-line block ×4, first 2 shown]
	s_nop 1
	v_mov_b32_dpp v18, v9 row_bcast:15 row_mask:0xf bank_mask:0xf
	v_cndmask_b32_e64 v18, v18, 0, s[8:9]
	v_add_u32_e32 v9, v9, v18
	s_nop 1
	v_mov_b32_dpp v18, v9 row_bcast:31 row_mask:0xf bank_mask:0xf
	v_cndmask_b32_e64 v18, 0, v18, s[10:11]
	v_add_u32_e32 v9, v9, v18
	s_and_saveexec_b64 s[14:15], s[12:13]
; %bb.6:                                ;   in Loop: Header=BB7_3 Depth=1
	ds_write_b32 v7, v9
; %bb.7:                                ;   in Loop: Header=BB7_3 Depth=1
	s_or_b64 exec, exec, s[14:15]
	ds_bpermute_b32 v9, v14, v9
	s_waitcnt lgkmcnt(0)
	; wave barrier
	s_add_i32 s18, s18, 8
	s_cmp_ge_u32 s18, s19
	v_cndmask_b32_e64 v9, v9, 0, s[16:17]
	v_add_u32_e32 v10, v9, v10
	v_add_u32_e32 v11, v10, v11
	;; [unrolled: 1-line block ×3, first 2 shown]
	ds_write2_b32 v2, v9, v10 offset0:1 offset1:2
	ds_write2_b32 v2, v11, v8 offset0:3 offset1:4
	s_waitcnt lgkmcnt(0)
	; wave barrier
	ds_read_b32 v8, v12 offset:4
	v_lshlrev_b32_e32 v9, 3, v17
	s_mov_b64 s[14:15], -1
	s_waitcnt lgkmcnt(0)
	v_lshl_add_u32 v10, v8, 3, v9
                                        ; implicit-def: $vgpr8_vgpr9
	s_cbranch_scc1 .LBB7_2
; %bb.8:                                ;   in Loop: Header=BB7_3 Depth=1
	; wave barrier
	ds_write_b64 v10, v[0:1]
	s_waitcnt lgkmcnt(0)
	; wave barrier
	ds_read_b64 v[8:9], v15
	s_add_i32 s20, s20, -8
	s_mov_b64 s[14:15], 0
	s_waitcnt lgkmcnt(0)
	; wave barrier
	s_branch .LBB7_2
.LBB7_9:
	s_mov_b64 s[14:15], 0
	; wave barrier
	ds_write_b64 v10, v[0:1]
	s_waitcnt lgkmcnt(0)
	; wave barrier
.LBB7_10:
	s_and_b64 vcc, exec, s[14:15]
	s_cbranch_vccz .LBB7_20
; %bb.11:
	v_mov_b32_e32 v0, 0
	v_mov_b32_e32 v1, 0
	;; [unrolled: 1-line block ×3, first 2 shown]
	s_branch .LBB7_13
.LBB7_12:                               ;   in Loop: Header=BB7_13 Depth=1
	s_andn2_b64 vcc, exec, s[14:15]
	s_cbranch_vccz .LBB7_19
.LBB7_13:                               ; =>This Inner Loop Header: Depth=1
	s_waitcnt vmcnt(0)
	v_mov_b32_e32 v10, v6
	v_mov_b32_e32 v9, v5
	v_lshrrev_b64 v[5:6], v0, v[9:10]
	ds_write2_b32 v2, v7, v7 offset0:1 offset1:2
	ds_write2_b32 v2, v7, v7 offset0:3 offset1:4
	v_and_b32_e32 v6, 0xff, v5
	v_lshl_add_u32 v17, v6, 2, v16
	v_and_b32_e32 v6, 1, v5
	v_add_co_u32_e32 v8, vcc, -1, v6
	v_addc_co_u32_e64 v11, s[14:15], 0, -1, vcc
	v_cmp_ne_u32_e32 vcc, 0, v6
	v_xor_b32_e32 v8, vcc_lo, v8
	v_xor_b32_e32 v6, vcc_hi, v11
	v_and_b32_e32 v11, exec_lo, v8
	v_lshlrev_b32_e32 v8, 30, v5
	v_cmp_gt_i64_e32 vcc, 0, v[7:8]
	v_not_b32_e32 v8, v8
	v_ashrrev_i32_e32 v8, 31, v8
	v_xor_b32_e32 v12, vcc_hi, v8
	v_xor_b32_e32 v8, vcc_lo, v8
	v_and_b32_e32 v11, v11, v8
	v_lshlrev_b32_e32 v8, 29, v5
	v_cmp_gt_i64_e32 vcc, 0, v[7:8]
	v_not_b32_e32 v8, v8
	v_and_b32_e32 v6, exec_hi, v6
	v_ashrrev_i32_e32 v8, 31, v8
	v_and_b32_e32 v6, v6, v12
	v_xor_b32_e32 v12, vcc_hi, v8
	v_xor_b32_e32 v8, vcc_lo, v8
	v_and_b32_e32 v11, v11, v8
	v_lshlrev_b32_e32 v8, 28, v5
	v_cmp_gt_i64_e32 vcc, 0, v[7:8]
	v_not_b32_e32 v8, v8
	v_ashrrev_i32_e32 v8, 31, v8
	v_and_b32_e32 v6, v6, v12
	v_xor_b32_e32 v12, vcc_hi, v8
	v_xor_b32_e32 v8, vcc_lo, v8
	v_and_b32_e32 v11, v11, v8
	v_lshlrev_b32_e32 v8, 27, v5
	v_cmp_gt_i64_e32 vcc, 0, v[7:8]
	v_not_b32_e32 v8, v8
	v_ashrrev_i32_e32 v8, 31, v8
	v_and_b32_e32 v6, v6, v12
	v_xor_b32_e32 v12, vcc_hi, v8
	v_xor_b32_e32 v8, vcc_lo, v8
	v_and_b32_e32 v11, v11, v8
	v_lshlrev_b32_e32 v8, 26, v5
	v_cmp_gt_i64_e32 vcc, 0, v[7:8]
	v_not_b32_e32 v8, v8
	v_ashrrev_i32_e32 v8, 31, v8
	v_and_b32_e32 v6, v6, v12
	v_xor_b32_e32 v12, vcc_hi, v8
	v_xor_b32_e32 v8, vcc_lo, v8
	v_and_b32_e32 v11, v11, v8
	v_lshlrev_b32_e32 v8, 25, v5
	v_cmp_gt_i64_e32 vcc, 0, v[7:8]
	v_not_b32_e32 v8, v8
	v_ashrrev_i32_e32 v8, 31, v8
	v_and_b32_e32 v6, v6, v12
	v_xor_b32_e32 v12, vcc_hi, v8
	v_xor_b32_e32 v8, vcc_lo, v8
	v_and_b32_e32 v11, v11, v8
	v_lshlrev_b32_e32 v8, 24, v5
	v_cmp_gt_i64_e32 vcc, 0, v[7:8]
	v_not_b32_e32 v5, v8
	v_ashrrev_i32_e32 v5, 31, v5
	v_xor_b32_e32 v8, vcc_hi, v5
	v_xor_b32_e32 v5, vcc_lo, v5
	v_and_b32_e32 v6, v6, v12
	v_and_b32_e32 v5, v11, v5
	;; [unrolled: 1-line block ×3, first 2 shown]
	v_mbcnt_lo_u32_b32 v8, v5, 0
	v_mbcnt_hi_u32_b32 v8, v6, v8
	v_cmp_ne_u64_e32 vcc, 0, v[5:6]
	v_cmp_eq_u32_e64 s[14:15], 0, v8
	s_and_b64 s[18:19], vcc, s[14:15]
	s_waitcnt lgkmcnt(0)
	; wave barrier
	; wave barrier
	s_and_saveexec_b64 s[14:15], s[18:19]
; %bb.14:                               ;   in Loop: Header=BB7_13 Depth=1
	v_bcnt_u32_b32 v5, v5, 0
	v_bcnt_u32_b32 v5, v6, v5
	ds_write_b32 v17, v5 offset:4
; %bb.15:                               ;   in Loop: Header=BB7_13 Depth=1
	s_or_b64 exec, exec, s[14:15]
	; wave barrier
	s_waitcnt lgkmcnt(0)
	; wave barrier
	ds_read2_b32 v[11:12], v2 offset0:1 offset1:2
	ds_read2_b32 v[5:6], v2 offset0:3 offset1:4
	s_waitcnt lgkmcnt(1)
	v_add_u32_e32 v18, v12, v11
	s_waitcnt lgkmcnt(0)
	v_add3_u32 v6, v18, v5, v6
	s_nop 1
	v_mov_b32_dpp v18, v6 row_shr:1 row_mask:0xf bank_mask:0xf
	v_cndmask_b32_e64 v18, v18, 0, s[0:1]
	v_add_u32_e32 v6, v18, v6
	s_nop 1
	v_mov_b32_dpp v18, v6 row_shr:2 row_mask:0xf bank_mask:0xf
	v_cndmask_b32_e64 v18, 0, v18, s[2:3]
	v_add_u32_e32 v6, v6, v18
	;; [unrolled: 4-line block ×4, first 2 shown]
	s_nop 1
	v_mov_b32_dpp v18, v6 row_bcast:15 row_mask:0xf bank_mask:0xf
	v_cndmask_b32_e64 v18, v18, 0, s[8:9]
	v_add_u32_e32 v6, v6, v18
	s_nop 1
	v_mov_b32_dpp v18, v6 row_bcast:31 row_mask:0xf bank_mask:0xf
	v_cndmask_b32_e64 v18, 0, v18, s[10:11]
	v_add_u32_e32 v6, v6, v18
	s_and_saveexec_b64 s[14:15], s[12:13]
; %bb.16:                               ;   in Loop: Header=BB7_13 Depth=1
	ds_write_b32 v7, v6
; %bb.17:                               ;   in Loop: Header=BB7_13 Depth=1
	s_or_b64 exec, exec, s[14:15]
	ds_bpermute_b32 v6, v14, v6
	s_waitcnt lgkmcnt(0)
	; wave barrier
	v_cmp_lt_u32_e32 vcc, 55, v0
	s_and_b64 vcc, exec, vcc
	v_cndmask_b32_e64 v6, v6, 0, s[16:17]
	v_add_u32_e32 v11, v6, v11
	v_add_u32_e32 v12, v11, v12
	;; [unrolled: 1-line block ×3, first 2 shown]
	ds_write2_b32 v2, v6, v11 offset0:1 offset1:2
	ds_write2_b32 v2, v12, v5 offset0:3 offset1:4
	s_waitcnt lgkmcnt(0)
	; wave barrier
	ds_read_b32 v5, v17 offset:4
	s_mov_b64 s[14:15], -1
	s_waitcnt lgkmcnt(0)
	v_add_u32_e32 v8, v5, v8
                                        ; implicit-def: $vgpr5_vgpr6
	s_cbranch_vccnz .LBB7_12
; %bb.18:                               ;   in Loop: Header=BB7_13 Depth=1
	v_lshlrev_b32_e32 v5, 3, v8
	; wave barrier
	ds_write_b64 v5, v[9:10]
	s_waitcnt lgkmcnt(0)
	; wave barrier
	ds_read_b64 v[5:6], v15
	v_add_co_u32_e32 v0, vcc, 8, v0
	v_addc_co_u32_e32 v1, vcc, 0, v1, vcc
	s_mov_b64 s[14:15], 0
	s_waitcnt lgkmcnt(0)
	; wave barrier
	s_branch .LBB7_12
.LBB7_19:
	v_lshlrev_b32_e32 v0, 3, v8
	; wave barrier
	ds_write_b64 v0, v[9:10]
	s_waitcnt lgkmcnt(0)
	; wave barrier
.LBB7_20:
	v_sub_u32_e32 v0, v2, v13
	ds_read_b64 v[0:1], v0
	s_waitcnt lgkmcnt(0)
	global_store_dwordx2 v[3:4], v[0:1], off
	s_endpgm
	.section	.rodata,"a",@progbits
	.p2align	6, 0x0
	.amdhsa_kernel _Z15sort_key_kernelILj64ELj1ELb0ELb0EyEvPT3_jj
		.amdhsa_group_segment_fixed_size 1040
		.amdhsa_private_segment_fixed_size 0
		.amdhsa_kernarg_size 272
		.amdhsa_user_sgpr_count 6
		.amdhsa_user_sgpr_private_segment_buffer 1
		.amdhsa_user_sgpr_dispatch_ptr 0
		.amdhsa_user_sgpr_queue_ptr 0
		.amdhsa_user_sgpr_kernarg_segment_ptr 1
		.amdhsa_user_sgpr_dispatch_id 0
		.amdhsa_user_sgpr_flat_scratch_init 0
		.amdhsa_user_sgpr_private_segment_size 0
		.amdhsa_uses_dynamic_stack 0
		.amdhsa_system_sgpr_private_segment_wavefront_offset 0
		.amdhsa_system_sgpr_workgroup_id_x 1
		.amdhsa_system_sgpr_workgroup_id_y 0
		.amdhsa_system_sgpr_workgroup_id_z 0
		.amdhsa_system_sgpr_workgroup_info 0
		.amdhsa_system_vgpr_workitem_id 2
		.amdhsa_next_free_vgpr 19
		.amdhsa_next_free_sgpr 24
		.amdhsa_reserve_vcc 1
		.amdhsa_reserve_flat_scratch 0
		.amdhsa_float_round_mode_32 0
		.amdhsa_float_round_mode_16_64 0
		.amdhsa_float_denorm_mode_32 3
		.amdhsa_float_denorm_mode_16_64 3
		.amdhsa_dx10_clamp 1
		.amdhsa_ieee_mode 1
		.amdhsa_fp16_overflow 0
		.amdhsa_exception_fp_ieee_invalid_op 0
		.amdhsa_exception_fp_denorm_src 0
		.amdhsa_exception_fp_ieee_div_zero 0
		.amdhsa_exception_fp_ieee_overflow 0
		.amdhsa_exception_fp_ieee_underflow 0
		.amdhsa_exception_fp_ieee_inexact 0
		.amdhsa_exception_int_div_zero 0
	.end_amdhsa_kernel
	.section	.text._Z15sort_key_kernelILj64ELj1ELb0ELb0EyEvPT3_jj,"axG",@progbits,_Z15sort_key_kernelILj64ELj1ELb0ELb0EyEvPT3_jj,comdat
.Lfunc_end7:
	.size	_Z15sort_key_kernelILj64ELj1ELb0ELb0EyEvPT3_jj, .Lfunc_end7-_Z15sort_key_kernelILj64ELj1ELb0ELb0EyEvPT3_jj
                                        ; -- End function
	.set _Z15sort_key_kernelILj64ELj1ELb0ELb0EyEvPT3_jj.num_vgpr, 19
	.set _Z15sort_key_kernelILj64ELj1ELb0ELb0EyEvPT3_jj.num_agpr, 0
	.set _Z15sort_key_kernelILj64ELj1ELb0ELb0EyEvPT3_jj.numbered_sgpr, 24
	.set _Z15sort_key_kernelILj64ELj1ELb0ELb0EyEvPT3_jj.num_named_barrier, 0
	.set _Z15sort_key_kernelILj64ELj1ELb0ELb0EyEvPT3_jj.private_seg_size, 0
	.set _Z15sort_key_kernelILj64ELj1ELb0ELb0EyEvPT3_jj.uses_vcc, 1
	.set _Z15sort_key_kernelILj64ELj1ELb0ELb0EyEvPT3_jj.uses_flat_scratch, 0
	.set _Z15sort_key_kernelILj64ELj1ELb0ELb0EyEvPT3_jj.has_dyn_sized_stack, 0
	.set _Z15sort_key_kernelILj64ELj1ELb0ELb0EyEvPT3_jj.has_recursion, 0
	.set _Z15sort_key_kernelILj64ELj1ELb0ELb0EyEvPT3_jj.has_indirect_call, 0
	.section	.AMDGPU.csdata,"",@progbits
; Kernel info:
; codeLenInByte = 1804
; TotalNumSgprs: 28
; NumVgprs: 19
; ScratchSize: 0
; MemoryBound: 0
; FloatMode: 240
; IeeeMode: 1
; LDSByteSize: 1040 bytes/workgroup (compile time only)
; SGPRBlocks: 3
; VGPRBlocks: 4
; NumSGPRsForWavesPerEU: 28
; NumVGPRsForWavesPerEU: 19
; Occupancy: 10
; WaveLimiterHint : 0
; COMPUTE_PGM_RSRC2:SCRATCH_EN: 0
; COMPUTE_PGM_RSRC2:USER_SGPR: 6
; COMPUTE_PGM_RSRC2:TRAP_HANDLER: 0
; COMPUTE_PGM_RSRC2:TGID_X_EN: 1
; COMPUTE_PGM_RSRC2:TGID_Y_EN: 0
; COMPUTE_PGM_RSRC2:TGID_Z_EN: 0
; COMPUTE_PGM_RSRC2:TIDIG_COMP_CNT: 2
	.section	.text._Z15sort_key_kernelILj234ELj9ELb0ELb0EsEvPT3_jj,"axG",@progbits,_Z15sort_key_kernelILj234ELj9ELb0ELb0EsEvPT3_jj,comdat
	.protected	_Z15sort_key_kernelILj234ELj9ELb0ELb0EsEvPT3_jj ; -- Begin function _Z15sort_key_kernelILj234ELj9ELb0ELb0EsEvPT3_jj
	.globl	_Z15sort_key_kernelILj234ELj9ELb0ELb0EsEvPT3_jj
	.p2align	8
	.type	_Z15sort_key_kernelILj234ELj9ELb0ELb0EsEvPT3_jj,@function
_Z15sort_key_kernelILj234ELj9ELb0ELb0EsEvPT3_jj: ; @_Z15sort_key_kernelILj234ELj9ELb0ELb0EsEvPT3_jj
; %bb.0:
	s_load_dwordx4 s[36:39], s[4:5], 0x0
	s_mul_i32 s0, s6, 0x83a
	s_mov_b32 s1, 0
	s_lshl_b64 s[0:1], s[0:1], 1
	v_mul_u32_u24_e32 v1, 9, v0
	s_waitcnt lgkmcnt(0)
	s_add_u32 s26, s36, s0
	s_addc_u32 s27, s37, s1
	v_lshlrev_b32_e32 v5, 1, v1
	global_load_dwordx4 v[1:4], v5, s[26:27]
	global_load_ushort v6, v5, s[26:27] offset:16
	v_mbcnt_lo_u32_b32 v7, -1, 0
	v_mbcnt_hi_u32_b32 v7, -1, v7
	v_subrev_co_u32_e64 v12, s[0:1], 1, v7
	v_and_b32_e32 v13, 64, v7
	v_lshrrev_b32_e32 v9, 4, v0
	v_cmp_lt_i32_e32 vcc, v12, v13
	v_and_b32_e32 v10, 15, v7
	v_and_b32_e32 v11, 16, v7
	v_cmp_lt_u32_e64 s[10:11], 31, v7
	v_and_b32_e32 v17, 12, v9
	v_and_b32_e32 v9, 3, v7
	v_cndmask_b32_e32 v7, v12, v7, vcc
	s_cmp_eq_u32 s38, 0
	v_and_b32_e32 v8, 0xc0, v0
	v_lshlrev_b32_e32 v18, 2, v7
	v_mov_b32_e32 v7, s27
	v_add_co_u32_e32 v13, vcc, s26, v5
	s_cselect_b64 s[26:27], -1, 0
	s_cmp_eq_u32 s39, 16
	s_movk_i32 s6, 0xffe4
	v_lshlrev_b32_e32 v16, 5, v0
	v_min_u32_e32 v8, 0xaa, v8
	s_cselect_b64 s[28:29], -1, 0
	v_mad_i32_i24 v19, v0, s6, v16
	v_add_u32_e32 v8, 63, v8
	v_addc_co_u32_e32 v14, vcc, 0, v7, vcc
	s_and_b64 s[26:27], s[26:27], s[28:29]
	v_mov_b32_e32 v26, 0
	s_mov_b64 s[24:25], -1
	v_cmp_gt_u32_e64 s[4:5], 4, v0
	v_cmp_lt_u32_e64 s[2:3], 63, v0
	v_lshlrev_b32_e32 v20, 2, v0
	v_cmp_eq_u32_e64 s[22:23], 0, v10
	v_cmp_lt_u32_e64 s[20:21], 1, v10
	v_cmp_lt_u32_e64 s[18:19], 3, v10
	;; [unrolled: 1-line block ×3, first 2 shown]
	v_cmp_eq_u32_e64 s[12:13], 0, v11
	v_cmp_eq_u32_e64 s[8:9], 0, v9
	v_cmp_lt_u32_e64 s[6:7], 1, v9
	v_mad_u32_u24 v15, v0, 14, v19
	v_cmp_eq_u32_e64 s[14:15], v0, v8
	s_and_b64 vcc, exec, s[26:27]
	s_waitcnt vmcnt(1)
	v_xor_b32_e32 v25, 0x80008000, v1
	v_xor_b32_e32 v24, 0x80008000, v2
	;; [unrolled: 1-line block ×4, first 2 shown]
	s_waitcnt vmcnt(0)
	v_xor_b32_e32 v21, 0xffff8000, v6
	s_cbranch_vccnz .LBB8_17
; %bb.1:
	s_movk_i32 s24, 0x3a8
	s_movk_i32 s26, 0x2be
	;; [unrolled: 1-line block ×4, first 2 shown]
	v_cmp_gt_u32_e64 s[24:25], s24, v0
	v_cmp_gt_u32_e64 s[26:27], s26, v0
	;; [unrolled: 1-line block ×4, first 2 shown]
	s_sub_i32 s36, s39, s38
	v_add_u32_e32 v28, 0x700, v20
	v_mov_b32_e32 v29, 1
	v_mov_b32_e32 v1, v25
	;; [unrolled: 1-line block ×6, first 2 shown]
	s_branch .LBB8_3
.LBB8_2:                                ;   in Loop: Header=BB8_3 Depth=1
	s_andn2_b64 vcc, exec, s[34:35]
	s_cbranch_vccz .LBB8_16
.LBB8_3:                                ; =>This Inner Loop Header: Depth=1
	v_mov_b32_e32 v27, v36
	ds_write2_b32 v20, v26, v26 offset1:234
	ds_write2_b32 v28, v26, v26 offset0:20 offset1:254
	s_and_saveexec_b64 s[34:35], s[24:25]
	s_cbranch_execz .LBB8_8
; %bb.4:                                ;   in Loop: Header=BB8_3 Depth=1
	ds_write_b32 v20, v26 offset:3744
	s_and_b64 exec, exec, s[26:27]
	s_cbranch_execz .LBB8_8
; %bb.5:                                ;   in Loop: Header=BB8_3 Depth=1
	ds_write_b32 v20, v26 offset:4680
	s_and_b64 exec, exec, s[28:29]
	;; [unrolled: 4-line block ×3, first 2 shown]
; %bb.7:                                ;   in Loop: Header=BB8_3 Depth=1
	ds_write_b32 v20, v26 offset:6552
.LBB8_8:                                ;   in Loop: Header=BB8_3 Depth=1
	s_or_b64 exec, exec, s[34:35]
	s_min_u32 s34, s36, 4
	s_lshl_b32 s34, -1, s34
	s_not_b32 s34, s34
	v_lshrrev_b32_sdwa v5, s38, v1 dst_sel:DWORD dst_unused:UNUSED_PAD src0_sel:DWORD src1_sel:WORD_0
	v_and_b32_e32 v5, s34, v5
	v_and_b32_e32 v6, 7, v5
	v_lshrrev_b32_e32 v5, 2, v5
	v_mad_u32_u24 v6, v6, s33, v0
	v_and_b32_e32 v5, 30, v5
	v_lshl_add_u32 v35, v6, 2, v5
	ds_read_u16 v34, v35
	v_lshrrev_b32_e32 v30, 16, v1
	v_lshrrev_b32_e32 v31, 16, v2
	;; [unrolled: 1-line block ×4, first 2 shown]
	s_waitcnt lgkmcnt(0)
	v_add_u16_e32 v5, 1, v34
	ds_write_b16 v35, v5
	v_lshrrev_b32_e32 v5, s38, v30
	v_and_b32_e32 v5, s34, v5
	v_and_b32_e32 v6, 7, v5
	v_lshrrev_b32_e32 v5, 2, v5
	v_mad_u32_u24 v6, v6, s33, v0
	v_and_b32_e32 v5, 30, v5
	v_lshl_add_u32 v38, v6, 2, v5
	ds_read_u16 v36, v38
	s_waitcnt lgkmcnt(0)
	v_add_u16_e32 v5, 1, v36
	ds_write_b16 v38, v5
	v_lshrrev_b32_sdwa v5, s38, v2 dst_sel:DWORD dst_unused:UNUSED_PAD src0_sel:DWORD src1_sel:WORD_0
	v_and_b32_e32 v5, s34, v5
	v_and_b32_e32 v6, 7, v5
	v_lshrrev_b32_e32 v5, 2, v5
	v_mad_u32_u24 v6, v6, s33, v0
	v_and_b32_e32 v5, 30, v5
	v_lshl_add_u32 v40, v6, 2, v5
	ds_read_u16 v37, v40
	s_waitcnt lgkmcnt(0)
	v_add_u16_e32 v5, 1, v37
	ds_write_b16 v40, v5
	v_lshrrev_b32_e32 v5, s38, v31
	v_and_b32_e32 v5, s34, v5
	v_and_b32_e32 v6, 7, v5
	v_lshrrev_b32_e32 v5, 2, v5
	v_mad_u32_u24 v6, v6, s33, v0
	v_and_b32_e32 v5, 30, v5
	v_lshl_add_u32 v42, v6, 2, v5
	ds_read_u16 v39, v42
	s_waitcnt lgkmcnt(0)
	v_add_u16_e32 v5, 1, v39
	ds_write_b16 v42, v5
	v_lshrrev_b32_sdwa v5, s38, v3 dst_sel:DWORD dst_unused:UNUSED_PAD src0_sel:DWORD src1_sel:WORD_0
	v_and_b32_e32 v5, s34, v5
	v_and_b32_e32 v6, 7, v5
	v_lshrrev_b32_e32 v5, 2, v5
	v_mad_u32_u24 v6, v6, s33, v0
	v_and_b32_e32 v5, 30, v5
	v_lshl_add_u32 v44, v6, 2, v5
	ds_read_u16 v41, v44
	;; [unrolled: 22-line block ×4, first 2 shown]
	s_waitcnt lgkmcnt(0)
	v_add_u16_e32 v5, 1, v49
	ds_write_b16 v54, v5
	s_waitcnt lgkmcnt(0)
	s_barrier
	ds_read2_b64 v[5:8], v16 offset1:1
	ds_read2_b64 v[9:12], v16 offset0:2 offset1:3
	s_waitcnt lgkmcnt(1)
	v_add_u32_e32 v51, v6, v5
	v_add3_u32 v51, v51, v7, v8
	s_waitcnt lgkmcnt(0)
	v_add3_u32 v51, v51, v9, v10
	v_add3_u32 v12, v51, v11, v12
	s_nop 1
	v_mov_b32_dpp v51, v12 row_shr:1 row_mask:0xf bank_mask:0xf
	v_cndmask_b32_e64 v51, v51, 0, s[22:23]
	v_add_u32_e32 v12, v51, v12
	s_nop 1
	v_mov_b32_dpp v51, v12 row_shr:2 row_mask:0xf bank_mask:0xf
	v_cndmask_b32_e64 v51, 0, v51, s[20:21]
	v_add_u32_e32 v12, v12, v51
	;; [unrolled: 4-line block ×4, first 2 shown]
	s_nop 1
	v_mov_b32_dpp v51, v12 row_bcast:15 row_mask:0xf bank_mask:0xf
	v_cndmask_b32_e64 v51, v51, 0, s[12:13]
	v_add_u32_e32 v12, v12, v51
	s_nop 1
	v_mov_b32_dpp v51, v12 row_bcast:31 row_mask:0xf bank_mask:0xf
	v_cndmask_b32_e64 v51, 0, v51, s[10:11]
	v_add_u32_e32 v51, v12, v51
	s_and_saveexec_b64 s[34:35], s[14:15]
; %bb.9:                                ;   in Loop: Header=BB8_3 Depth=1
	ds_write_b32 v17, v51 offset:7488
; %bb.10:                               ;   in Loop: Header=BB8_3 Depth=1
	s_or_b64 exec, exec, s[34:35]
	s_waitcnt lgkmcnt(0)
	s_barrier
	s_and_saveexec_b64 s[34:35], s[4:5]
	s_cbranch_execz .LBB8_12
; %bb.11:                               ;   in Loop: Header=BB8_3 Depth=1
	ds_read_b32 v12, v19 offset:7488
	s_waitcnt lgkmcnt(0)
	s_nop 0
	v_mov_b32_dpp v52, v12 row_shr:1 row_mask:0xf bank_mask:0xf
	v_cndmask_b32_e64 v52, v52, 0, s[8:9]
	v_add_u32_e32 v12, v52, v12
	s_nop 1
	v_mov_b32_dpp v52, v12 row_shr:2 row_mask:0xf bank_mask:0xf
	v_cndmask_b32_e64 v52, 0, v52, s[6:7]
	v_add_u32_e32 v12, v12, v52
	ds_write_b32 v19, v12 offset:7488
.LBB8_12:                               ;   in Loop: Header=BB8_3 Depth=1
	s_or_b64 exec, exec, s[34:35]
	v_mov_b32_e32 v55, 0
	s_waitcnt lgkmcnt(0)
	s_barrier
	s_and_saveexec_b64 s[34:35], s[2:3]
; %bb.13:                               ;   in Loop: Header=BB8_3 Depth=1
	ds_read_b32 v55, v17 offset:7484
; %bb.14:                               ;   in Loop: Header=BB8_3 Depth=1
	s_or_b64 exec, exec, s[34:35]
	s_waitcnt lgkmcnt(0)
	v_add_u32_e32 v51, v55, v51
	ds_bpermute_b32 v56, v18, v51
	ds_read_b32 v57, v26 offset:7500
	v_lshlrev_b32_sdwa v34, v29, v34 dst_sel:DWORD dst_unused:UNUSED_PAD src0_sel:DWORD src1_sel:WORD_0
	s_add_i32 s38, s38, 4
	v_mov_b32_e32 v12, v1
	s_waitcnt lgkmcnt(1)
	v_cndmask_b32_e64 v55, v56, v55, s[0:1]
	s_waitcnt lgkmcnt(0)
	v_lshl_add_u32 v55, v57, 16, v55
	v_add_u32_e32 v56, v55, v5
	v_add_u32_e32 v5, v56, v6
	;; [unrolled: 1-line block ×7, first 2 shown]
	ds_write2_b64 v16, v[55:56], v[5:6] offset1:1
	ds_write2_b64 v16, v[7:8], v[9:10] offset0:2 offset1:3
	s_waitcnt lgkmcnt(0)
	s_barrier
	ds_read_u16 v5, v35
	ds_read_u16 v6, v38
	;; [unrolled: 1-line block ×9, first 2 shown]
	s_waitcnt lgkmcnt(8)
	v_lshl_add_u32 v5, v5, 1, v34
	v_lshlrev_b32_sdwa v34, v29, v36 dst_sel:DWORD dst_unused:UNUSED_PAD src0_sel:DWORD src1_sel:WORD_0
	s_waitcnt lgkmcnt(7)
	v_lshl_add_u32 v6, v6, 1, v34
	v_lshlrev_b32_sdwa v34, v29, v37 dst_sel:DWORD dst_unused:UNUSED_PAD src0_sel:DWORD src1_sel:WORD_0
	;; [unrolled: 3-line block ×8, first 2 shown]
	v_mov_b32_e32 v53, v2
	v_mov_b32_e32 v52, v3
	;; [unrolled: 1-line block ×3, first 2 shown]
	s_cmp_ge_u32 s38, s39
	s_waitcnt lgkmcnt(0)
	v_lshl_add_u32 v35, v38, 1, v35
	s_mov_b64 s[34:35], -1
                                        ; implicit-def: $vgpr36
	s_cbranch_scc1 .LBB8_2
; %bb.15:                               ;   in Loop: Header=BB8_3 Depth=1
	s_barrier
	ds_write_b16 v5, v1
	ds_write_b16 v6, v30
	;; [unrolled: 1-line block ×9, first 2 shown]
	s_waitcnt lgkmcnt(0)
	s_barrier
	ds_read_b128 v[1:4], v15
	ds_read_u16 v36, v15 offset:16
	s_add_i32 s36, s36, -4
	s_mov_b64 s[34:35], 0
	s_waitcnt lgkmcnt(0)
	s_barrier
	s_branch .LBB8_2
.LBB8_16:
	s_mov_b64 s[24:25], 0
	s_barrier
	ds_write_b16 v5, v12
	ds_write_b16 v6, v30
	ds_write_b16 v7, v53
	ds_write_b16 v8, v31
	ds_write_b16 v9, v52
	ds_write_b16 v10, v32
	ds_write_b16 v11, v51
	ds_write_b16 v34, v33
	ds_write_b16 v35, v27
	s_waitcnt lgkmcnt(0)
	s_barrier
.LBB8_17:
	s_and_b64 vcc, exec, s[24:25]
	s_cbranch_vccz .LBB8_63
; %bb.18:
	v_mad_i32_i24 v1, v0, -14, v15
	v_mov_b32_e32 v2, 0
	s_movk_i32 s24, 0x3a8
	ds_write2_b32 v1, v2, v2 offset1:234
	v_add_u32_e32 v1, 0x700, v1
	v_cmp_gt_u32_e32 vcc, s24, v0
	ds_write2_b32 v1, v2, v2 offset0:20 offset1:254
	s_and_saveexec_b64 s[26:27], vcc
	s_cbranch_execz .LBB8_23
; %bb.19:
	v_mul_i32_i24_e32 v1, -14, v0
	s_movk_i32 s24, 0x2be
	v_add_u32_e32 v1, v15, v1
	v_cmp_gt_u32_e64 s[24:25], s24, v0
	ds_write_b32 v1, v2 offset:3744
	s_and_b64 exec, exec, s[24:25]
	s_cbranch_execz .LBB8_23
; %bb.20:
	s_movk_i32 s24, 0x1d4
	v_mov_b32_e32 v2, 0
	v_cmp_gt_u32_e64 s[24:25], s24, v0
	ds_write_b32 v1, v2 offset:4680
	s_and_b64 exec, exec, s[24:25]
	s_cbranch_execz .LBB8_23
; %bb.21:
	s_movk_i32 s24, 0xea
	v_cmp_gt_u32_e64 s[24:25], s24, v0
	ds_write_b32 v1, v2 offset:5616
	s_and_b64 exec, exec, s[24:25]
; %bb.22:
	v_mov_b32_e32 v2, 0
	ds_write_b32 v1, v2 offset:6552
.LBB8_23:
	s_or_b64 exec, exec, s[26:27]
	v_and_b32_e32 v1, 7, v25
	s_movk_i32 s24, 0xea
	v_lshrrev_b32_e32 v2, 2, v25
	v_mad_u32_u24 v1, v1, s24, v0
	v_and_b32_e32 v2, 2, v2
	v_lshl_or_b32 v11, v1, 2, v2
	ds_read_u16 v9, v11
	v_bfe_u32 v1, v25, 16, 3
	v_mad_u32_u24 v1, v1, s24, v0
	s_waitcnt lgkmcnt(0)
	v_add_u16_e32 v2, 1, v9
	ds_write_b16 v11, v2
	v_lshrrev_b32_e32 v2, 18, v25
	v_and_b32_e32 v2, 2, v2
	v_lshl_or_b32 v27, v1, 2, v2
	ds_read_u16 v10, v27
	v_lshrrev_b32_e32 v2, 2, v24
	v_and_b32_e32 v2, 2, v2
	s_waitcnt lgkmcnt(0)
	v_add_u16_e32 v1, 1, v10
	ds_write_b16 v27, v1
	v_and_b32_e32 v1, 7, v24
	v_mad_u32_u24 v1, v1, s24, v0
	v_lshl_or_b32 v30, v1, 2, v2
	ds_read_u16 v12, v30
	v_lshrrev_b32_e32 v2, 18, v24
	v_and_b32_e32 v2, 2, v2
	s_waitcnt lgkmcnt(0)
	v_add_u16_e32 v1, 1, v12
	ds_write_b16 v30, v1
	v_bfe_u32 v1, v24, 16, 3
	v_mad_u32_u24 v1, v1, s24, v0
	v_lshl_or_b32 v32, v1, 2, v2
	ds_read_u16 v26, v32
	v_lshrrev_b32_e32 v2, 2, v23
	v_and_b32_e32 v2, 2, v2
	s_waitcnt lgkmcnt(0)
	v_add_u16_e32 v1, 1, v26
	ds_write_b16 v32, v1
	v_and_b32_e32 v1, 7, v23
	v_mad_u32_u24 v1, v1, s24, v0
	v_lshl_or_b32 v34, v1, 2, v2
	ds_read_u16 v28, v34
	v_lshrrev_b32_e32 v2, 18, v23
	v_and_b32_e32 v2, 2, v2
	s_waitcnt lgkmcnt(0)
	v_add_u16_e32 v1, 1, v28
	ds_write_b16 v34, v1
	v_bfe_u32 v1, v23, 16, 3
	v_mad_u32_u24 v1, v1, s24, v0
	;; [unrolled: 18-line block ×3, first 2 shown]
	v_lshl_or_b32 v38, v1, 2, v2
	ds_read_u16 v33, v38
	v_mov_b32_e32 v2, 2
	v_lshrrev_b32_sdwa v2, v2, v21 dst_sel:DWORD dst_unused:UNUSED_PAD src0_sel:DWORD src1_sel:WORD_0
	v_and_b32_e32 v2, 2, v2
	s_waitcnt lgkmcnt(0)
	v_add_u16_e32 v1, 1, v33
	ds_write_b16 v38, v1
	v_mov_b32_e32 v1, 7
	v_and_b32_sdwa v1, v21, v1 dst_sel:DWORD dst_unused:UNUSED_PAD src0_sel:WORD_0 src1_sel:DWORD
	v_mad_u32_u24 v1, v1, s24, v0
	v_lshl_or_b32 v39, v1, 2, v2
	ds_read_u16 v35, v39
	s_waitcnt lgkmcnt(0)
	v_add_u16_e32 v1, 1, v35
	ds_write_b16 v39, v1
	s_waitcnt lgkmcnt(0)
	s_barrier
	ds_read2_b64 v[5:8], v16 offset1:1
	ds_read2_b64 v[1:4], v16 offset0:2 offset1:3
	s_waitcnt lgkmcnt(1)
	v_add_u32_e32 v40, v6, v5
	v_add3_u32 v40, v40, v7, v8
	s_waitcnt lgkmcnt(0)
	v_add3_u32 v40, v40, v1, v2
	v_add3_u32 v4, v40, v3, v4
	s_nop 1
	v_mov_b32_dpp v40, v4 row_shr:1 row_mask:0xf bank_mask:0xf
	v_cndmask_b32_e64 v40, v40, 0, s[22:23]
	v_add_u32_e32 v4, v40, v4
	s_nop 1
	v_mov_b32_dpp v40, v4 row_shr:2 row_mask:0xf bank_mask:0xf
	v_cndmask_b32_e64 v40, 0, v40, s[20:21]
	v_add_u32_e32 v4, v4, v40
	;; [unrolled: 4-line block ×4, first 2 shown]
	s_nop 1
	v_mov_b32_dpp v40, v4 row_bcast:15 row_mask:0xf bank_mask:0xf
	v_cndmask_b32_e64 v40, v40, 0, s[12:13]
	v_add_u32_e32 v4, v4, v40
	s_nop 1
	v_mov_b32_dpp v40, v4 row_bcast:31 row_mask:0xf bank_mask:0xf
	v_cndmask_b32_e64 v40, 0, v40, s[10:11]
	v_add_u32_e32 v44, v4, v40
	s_and_saveexec_b64 s[24:25], s[14:15]
; %bb.24:
	ds_write_b32 v17, v44 offset:7488
; %bb.25:
	s_or_b64 exec, exec, s[24:25]
	s_waitcnt lgkmcnt(0)
	s_barrier
	s_and_saveexec_b64 s[24:25], s[4:5]
	s_cbranch_execz .LBB8_27
; %bb.26:
	ds_read_b32 v4, v19 offset:7488
	s_waitcnt lgkmcnt(0)
	s_nop 0
	v_mov_b32_dpp v40, v4 row_shr:1 row_mask:0xf bank_mask:0xf
	v_cndmask_b32_e64 v40, v40, 0, s[8:9]
	v_add_u32_e32 v4, v40, v4
	s_nop 1
	v_mov_b32_dpp v40, v4 row_shr:2 row_mask:0xf bank_mask:0xf
	v_cndmask_b32_e64 v40, 0, v40, s[6:7]
	v_add_u32_e32 v4, v4, v40
	ds_write_b32 v19, v4 offset:7488
.LBB8_27:
	s_or_b64 exec, exec, s[24:25]
	v_lshrrev_b32_e32 v43, 16, v25
	v_lshrrev_b32_e32 v42, 16, v24
	;; [unrolled: 1-line block ×4, first 2 shown]
	v_mov_b32_e32 v40, 0
	v_mov_b32_e32 v45, 0
	s_waitcnt lgkmcnt(0)
	s_barrier
	s_and_saveexec_b64 s[24:25], s[2:3]
; %bb.28:
	ds_read_b32 v45, v17 offset:7484
; %bb.29:
	s_or_b64 exec, exec, s[24:25]
	s_waitcnt lgkmcnt(0)
	v_add_u32_e32 v44, v45, v44
	ds_bpermute_b32 v44, v18, v44
	ds_read_b32 v46, v40 offset:7500
	s_waitcnt lgkmcnt(1)
	v_cndmask_b32_e64 v44, v44, v45, s[0:1]
	s_waitcnt lgkmcnt(0)
	v_lshl_add_u32 v44, v46, 16, v44
	v_add_u32_e32 v45, v44, v5
	v_add_u32_e32 v5, v45, v6
	;; [unrolled: 1-line block ×7, first 2 shown]
	ds_write2_b64 v16, v[44:45], v[5:6] offset1:1
	ds_write2_b64 v16, v[7:8], v[1:2] offset0:2 offset1:3
	s_waitcnt lgkmcnt(0)
	s_barrier
	ds_read_u16 v1, v11
	ds_read_u16 v2, v27
	;; [unrolled: 1-line block ×9, first 2 shown]
	v_mov_b32_e32 v30, 1
	v_lshlrev_b32_sdwa v9, v30, v9 dst_sel:DWORD dst_unused:UNUSED_PAD src0_sel:DWORD src1_sel:WORD_0
	s_waitcnt lgkmcnt(8)
	v_lshl_add_u32 v1, v1, 1, v9
	s_waitcnt lgkmcnt(0)
	s_barrier
	ds_write_b16 v1, v25
	v_lshlrev_b32_sdwa v1, v30, v10 dst_sel:DWORD dst_unused:UNUSED_PAD src0_sel:DWORD src1_sel:WORD_0
	v_lshl_add_u32 v1, v2, 1, v1
	ds_write_b16 v1, v43
	v_lshlrev_b32_sdwa v1, v30, v12 dst_sel:DWORD dst_unused:UNUSED_PAD src0_sel:DWORD src1_sel:WORD_0
	v_lshl_add_u32 v1, v3, 1, v1
	;; [unrolled: 3-line block ×8, first 2 shown]
	ds_write_b16 v1, v21
	s_waitcnt lgkmcnt(0)
	s_barrier
	ds_read_b128 v[1:4], v15
	ds_read_u16 v21, v15 offset:16
	v_add_u32_e32 v5, 0x700, v20
	s_waitcnt lgkmcnt(0)
	s_barrier
	ds_write2_b32 v20, v40, v40 offset1:234
	ds_write2_b32 v5, v40, v40 offset0:20 offset1:254
	s_and_saveexec_b64 s[26:27], vcc
	s_cbranch_execz .LBB8_34
; %bb.30:
	s_movk_i32 s24, 0x2be
	v_mov_b32_e32 v5, 0
	v_cmp_gt_u32_e64 s[24:25], s24, v0
	ds_write_b32 v20, v5 offset:3744
	s_and_b64 exec, exec, s[24:25]
	s_cbranch_execz .LBB8_34
; %bb.31:
	s_movk_i32 s24, 0x1d4
	v_cmp_gt_u32_e64 s[24:25], s24, v0
	ds_write_b32 v20, v5 offset:4680
	s_and_b64 exec, exec, s[24:25]
	s_cbranch_execz .LBB8_34
; %bb.32:
	s_movk_i32 s24, 0xea
	v_mov_b32_e32 v5, 0
	v_cmp_gt_u32_e64 s[24:25], s24, v0
	ds_write_b32 v20, v5 offset:5616
	s_and_b64 exec, exec, s[24:25]
; %bb.33:
	ds_write_b32 v20, v5 offset:6552
.LBB8_34:
	s_or_b64 exec, exec, s[26:27]
	v_lshrrev_b16_e32 v5, 4, v1
	v_and_b32_e32 v6, 7, v5
	s_movk_i32 s24, 0xea
	v_lshrrev_b32_e32 v5, 2, v5
	v_mad_u32_u24 v6, v6, s24, v0
	v_and_b32_e32 v5, 2, v5
	v_lshl_or_b32 v24, v6, 2, v5
	ds_read_u16 v22, v24
	v_bfe_u32 v5, v1, 20, 3
	v_mad_u32_u24 v5, v5, s24, v0
	s_waitcnt lgkmcnt(0)
	v_add_u16_e32 v6, 1, v22
	ds_write_b16 v24, v6
	v_lshrrev_b32_e32 v6, 22, v1
	v_and_b32_e32 v6, 2, v6
	v_lshl_or_b32 v27, v5, 2, v6
	ds_read_u16 v23, v27
	s_waitcnt lgkmcnt(0)
	v_add_u16_e32 v5, 1, v23
	ds_write_b16 v27, v5
	v_lshrrev_b16_e32 v5, 4, v2
	v_and_b32_e32 v6, 7, v5
	v_lshrrev_b32_e32 v5, 2, v5
	v_mad_u32_u24 v6, v6, s24, v0
	v_and_b32_e32 v5, 2, v5
	v_lshl_or_b32 v29, v6, 2, v5
	ds_read_u16 v25, v29
	v_lshrrev_b32_e32 v6, 22, v2
	v_and_b32_e32 v6, 2, v6
	s_waitcnt lgkmcnt(0)
	v_add_u16_e32 v5, 1, v25
	ds_write_b16 v29, v5
	v_bfe_u32 v5, v2, 20, 3
	v_mad_u32_u24 v5, v5, s24, v0
	v_lshl_or_b32 v32, v5, 2, v6
	ds_read_u16 v26, v32
	s_waitcnt lgkmcnt(0)
	v_add_u16_e32 v5, 1, v26
	ds_write_b16 v32, v5
	v_lshrrev_b16_e32 v5, 4, v3
	v_and_b32_e32 v6, 7, v5
	v_lshrrev_b32_e32 v5, 2, v5
	v_mad_u32_u24 v6, v6, s24, v0
	v_and_b32_e32 v5, 2, v5
	v_lshl_or_b32 v34, v6, 2, v5
	ds_read_u16 v28, v34
	v_lshrrev_b32_e32 v6, 22, v3
	v_and_b32_e32 v6, 2, v6
	s_waitcnt lgkmcnt(0)
	v_add_u16_e32 v5, 1, v28
	ds_write_b16 v34, v5
	v_bfe_u32 v5, v3, 20, 3
	v_mad_u32_u24 v5, v5, s24, v0
	;; [unrolled: 19-line block ×3, first 2 shown]
	v_lshl_or_b32 v38, v5, 2, v6
	ds_read_u16 v33, v38
	s_waitcnt lgkmcnt(0)
	v_add_u16_e32 v5, 1, v33
	ds_write_b16 v38, v5
	v_lshrrev_b16_e32 v5, 4, v21
	v_and_b32_e32 v6, 7, v5
	v_lshrrev_b32_e32 v5, 2, v5
	v_mad_u32_u24 v6, v6, s24, v0
	v_and_b32_e32 v5, 2, v5
	v_lshl_or_b32 v39, v6, 2, v5
	ds_read_u16 v35, v39
	s_waitcnt lgkmcnt(0)
	v_add_u16_e32 v5, 1, v35
	ds_write_b16 v39, v5
	s_waitcnt lgkmcnt(0)
	s_barrier
	ds_read2_b64 v[9:12], v16 offset1:1
	ds_read2_b64 v[5:8], v16 offset0:2 offset1:3
	s_waitcnt lgkmcnt(1)
	v_add_u32_e32 v40, v10, v9
	v_add3_u32 v40, v40, v11, v12
	s_waitcnt lgkmcnt(0)
	v_add3_u32 v40, v40, v5, v6
	v_add3_u32 v8, v40, v7, v8
	s_nop 1
	v_mov_b32_dpp v40, v8 row_shr:1 row_mask:0xf bank_mask:0xf
	v_cndmask_b32_e64 v40, v40, 0, s[22:23]
	v_add_u32_e32 v8, v40, v8
	s_nop 1
	v_mov_b32_dpp v40, v8 row_shr:2 row_mask:0xf bank_mask:0xf
	v_cndmask_b32_e64 v40, 0, v40, s[20:21]
	v_add_u32_e32 v8, v8, v40
	s_nop 1
	v_mov_b32_dpp v40, v8 row_shr:4 row_mask:0xf bank_mask:0xf
	v_cndmask_b32_e64 v40, 0, v40, s[18:19]
	v_add_u32_e32 v8, v8, v40
	s_nop 1
	v_mov_b32_dpp v40, v8 row_shr:8 row_mask:0xf bank_mask:0xf
	v_cndmask_b32_e64 v40, 0, v40, s[16:17]
	v_add_u32_e32 v8, v8, v40
	s_nop 1
	v_mov_b32_dpp v40, v8 row_bcast:15 row_mask:0xf bank_mask:0xf
	v_cndmask_b32_e64 v40, v40, 0, s[12:13]
	v_add_u32_e32 v8, v8, v40
	s_nop 1
	v_mov_b32_dpp v40, v8 row_bcast:31 row_mask:0xf bank_mask:0xf
	v_cndmask_b32_e64 v40, 0, v40, s[10:11]
	v_add_u32_e32 v44, v8, v40
	s_and_saveexec_b64 s[24:25], s[14:15]
; %bb.35:
	ds_write_b32 v17, v44 offset:7488
; %bb.36:
	s_or_b64 exec, exec, s[24:25]
	s_waitcnt lgkmcnt(0)
	s_barrier
	s_and_saveexec_b64 s[24:25], s[4:5]
	s_cbranch_execz .LBB8_38
; %bb.37:
	ds_read_b32 v8, v19 offset:7488
	s_waitcnt lgkmcnt(0)
	s_nop 0
	v_mov_b32_dpp v40, v8 row_shr:1 row_mask:0xf bank_mask:0xf
	v_cndmask_b32_e64 v40, v40, 0, s[8:9]
	v_add_u32_e32 v8, v40, v8
	s_nop 1
	v_mov_b32_dpp v40, v8 row_shr:2 row_mask:0xf bank_mask:0xf
	v_cndmask_b32_e64 v40, 0, v40, s[6:7]
	v_add_u32_e32 v8, v8, v40
	ds_write_b32 v19, v8 offset:7488
.LBB8_38:
	s_or_b64 exec, exec, s[24:25]
	v_lshrrev_b32_e32 v43, 16, v1
	v_lshrrev_b32_e32 v42, 16, v2
	;; [unrolled: 1-line block ×4, first 2 shown]
	v_mov_b32_e32 v8, 0
	v_mov_b32_e32 v45, 0
	s_waitcnt lgkmcnt(0)
	s_barrier
	s_and_saveexec_b64 s[24:25], s[2:3]
; %bb.39:
	ds_read_b32 v45, v17 offset:7484
; %bb.40:
	s_or_b64 exec, exec, s[24:25]
	s_waitcnt lgkmcnt(0)
	v_add_u32_e32 v44, v45, v44
	ds_bpermute_b32 v44, v18, v44
	ds_read_b32 v46, v8 offset:7500
	s_waitcnt lgkmcnt(1)
	v_cndmask_b32_e64 v44, v44, v45, s[0:1]
	s_waitcnt lgkmcnt(0)
	v_lshl_add_u32 v44, v46, 16, v44
	v_add_u32_e32 v45, v44, v9
	v_add_u32_e32 v9, v45, v10
	;; [unrolled: 1-line block ×7, first 2 shown]
	ds_write2_b64 v16, v[44:45], v[9:10] offset1:1
	ds_write2_b64 v16, v[11:12], v[5:6] offset0:2 offset1:3
	s_waitcnt lgkmcnt(0)
	s_barrier
	ds_read_u16 v5, v24
	ds_read_u16 v6, v27
	;; [unrolled: 1-line block ×9, first 2 shown]
	v_mov_b32_e32 v29, 1
	v_lshlrev_b32_sdwa v22, v29, v22 dst_sel:DWORD dst_unused:UNUSED_PAD src0_sel:DWORD src1_sel:WORD_0
	s_waitcnt lgkmcnt(8)
	v_lshl_add_u32 v5, v5, 1, v22
	s_waitcnt lgkmcnt(0)
	s_barrier
	ds_write_b16 v5, v1
	v_lshlrev_b32_sdwa v1, v29, v23 dst_sel:DWORD dst_unused:UNUSED_PAD src0_sel:DWORD src1_sel:WORD_0
	v_lshl_add_u32 v1, v6, 1, v1
	ds_write_b16 v1, v43
	v_lshlrev_b32_sdwa v1, v29, v25 dst_sel:DWORD dst_unused:UNUSED_PAD src0_sel:DWORD src1_sel:WORD_0
	v_lshl_add_u32 v1, v7, 1, v1
	;; [unrolled: 3-line block ×8, first 2 shown]
	ds_write_b16 v1, v21
	s_waitcnt lgkmcnt(0)
	s_barrier
	ds_read_b128 v[1:4], v15
	ds_read_u16 v21, v15 offset:16
	v_add_u32_e32 v5, 0x700, v20
	s_waitcnt lgkmcnt(0)
	s_barrier
	ds_write2_b32 v20, v8, v8 offset1:234
	ds_write2_b32 v5, v8, v8 offset0:20 offset1:254
	s_and_saveexec_b64 s[26:27], vcc
	s_cbranch_execz .LBB8_45
; %bb.41:
	s_movk_i32 s24, 0x2be
	v_mov_b32_e32 v5, 0
	v_cmp_gt_u32_e64 s[24:25], s24, v0
	ds_write_b32 v20, v5 offset:3744
	s_and_b64 exec, exec, s[24:25]
	s_cbranch_execz .LBB8_45
; %bb.42:
	s_movk_i32 s24, 0x1d4
	v_cmp_gt_u32_e64 s[24:25], s24, v0
	ds_write_b32 v20, v5 offset:4680
	s_and_b64 exec, exec, s[24:25]
	s_cbranch_execz .LBB8_45
; %bb.43:
	s_movk_i32 s24, 0xea
	v_mov_b32_e32 v5, 0
	v_cmp_gt_u32_e64 s[24:25], s24, v0
	ds_write_b32 v20, v5 offset:5616
	s_and_b64 exec, exec, s[24:25]
; %bb.44:
	ds_write_b32 v20, v5 offset:6552
.LBB8_45:
	s_or_b64 exec, exec, s[26:27]
	v_mov_b32_e32 v5, 7
	v_mov_b32_e32 v7, 2
	v_and_b32_sdwa v6, v1, v5 dst_sel:DWORD dst_unused:UNUSED_PAD src0_sel:BYTE_1 src1_sel:DWORD
	s_movk_i32 s24, 0xea
	v_lshrrev_b32_sdwa v8, v7, v1 dst_sel:DWORD dst_unused:UNUSED_PAD src0_sel:DWORD src1_sel:BYTE_1
	v_mad_u32_u24 v6, v6, s24, v0
	v_and_b32_e32 v8, 2, v8
	v_lshl_or_b32 v25, v6, 2, v8
	ds_read_u16 v22, v25
	v_lshrrev_b32_e32 v8, 26, v1
	v_and_b32_e32 v8, 2, v8
	s_waitcnt lgkmcnt(0)
	v_add_u16_e32 v6, 1, v22
	ds_write_b16 v25, v6
	v_bfe_u32 v6, v1, 24, 3
	v_mad_u32_u24 v6, v6, s24, v0
	v_lshl_or_b32 v27, v6, 2, v8
	ds_read_u16 v23, v27
	v_lshrrev_b32_sdwa v8, v7, v2 dst_sel:DWORD dst_unused:UNUSED_PAD src0_sel:DWORD src1_sel:BYTE_1
	v_and_b32_e32 v8, 2, v8
	s_waitcnt lgkmcnt(0)
	v_add_u16_e32 v6, 1, v23
	ds_write_b16 v27, v6
	v_and_b32_sdwa v6, v2, v5 dst_sel:DWORD dst_unused:UNUSED_PAD src0_sel:BYTE_1 src1_sel:DWORD
	v_mad_u32_u24 v6, v6, s24, v0
	v_lshl_or_b32 v30, v6, 2, v8
	ds_read_u16 v24, v30
	v_lshrrev_b32_e32 v8, 26, v2
	v_and_b32_e32 v8, 2, v8
	s_waitcnt lgkmcnt(0)
	v_add_u16_e32 v6, 1, v24
	ds_write_b16 v30, v6
	v_bfe_u32 v6, v2, 24, 3
	v_mad_u32_u24 v6, v6, s24, v0
	v_lshl_or_b32 v32, v6, 2, v8
	ds_read_u16 v26, v32
	v_lshrrev_b32_sdwa v8, v7, v3 dst_sel:DWORD dst_unused:UNUSED_PAD src0_sel:DWORD src1_sel:BYTE_1
	v_and_b32_e32 v8, 2, v8
	s_waitcnt lgkmcnt(0)
	v_add_u16_e32 v6, 1, v26
	ds_write_b16 v32, v6
	v_and_b32_sdwa v6, v3, v5 dst_sel:DWORD dst_unused:UNUSED_PAD src0_sel:BYTE_1 src1_sel:DWORD
	v_mad_u32_u24 v6, v6, s24, v0
	;; [unrolled: 18-line block ×3, first 2 shown]
	v_lshl_or_b32 v37, v6, 2, v8
	ds_read_u16 v31, v37
	v_lshrrev_b32_e32 v8, 26, v4
	v_and_b32_e32 v8, 2, v8
	v_and_b32_sdwa v5, v21, v5 dst_sel:DWORD dst_unused:UNUSED_PAD src0_sel:BYTE_1 src1_sel:DWORD
	v_mad_u32_u24 v5, v5, s24, v0
	s_waitcnt lgkmcnt(0)
	v_add_u16_e32 v6, 1, v31
	ds_write_b16 v37, v6
	v_bfe_u32 v6, v4, 24, 3
	v_mad_u32_u24 v6, v6, s24, v0
	v_lshl_or_b32 v38, v6, 2, v8
	ds_read_u16 v33, v38
	s_waitcnt lgkmcnt(0)
	v_add_u16_e32 v6, 1, v33
	ds_write_b16 v38, v6
	v_lshrrev_b32_sdwa v6, v7, v21 dst_sel:DWORD dst_unused:UNUSED_PAD src0_sel:DWORD src1_sel:BYTE_1
	v_and_b32_e32 v6, 2, v6
	v_lshl_or_b32 v39, v5, 2, v6
	ds_read_u16 v35, v39
	s_waitcnt lgkmcnt(0)
	v_add_u16_e32 v5, 1, v35
	ds_write_b16 v39, v5
	s_waitcnt lgkmcnt(0)
	s_barrier
	ds_read2_b64 v[9:12], v16 offset1:1
	ds_read2_b64 v[5:8], v16 offset0:2 offset1:3
	s_waitcnt lgkmcnt(1)
	v_add_u32_e32 v40, v10, v9
	v_add3_u32 v40, v40, v11, v12
	s_waitcnt lgkmcnt(0)
	v_add3_u32 v40, v40, v5, v6
	v_add3_u32 v8, v40, v7, v8
	s_nop 1
	v_mov_b32_dpp v40, v8 row_shr:1 row_mask:0xf bank_mask:0xf
	v_cndmask_b32_e64 v40, v40, 0, s[22:23]
	v_add_u32_e32 v8, v40, v8
	s_nop 1
	v_mov_b32_dpp v40, v8 row_shr:2 row_mask:0xf bank_mask:0xf
	v_cndmask_b32_e64 v40, 0, v40, s[20:21]
	v_add_u32_e32 v8, v8, v40
	;; [unrolled: 4-line block ×4, first 2 shown]
	s_nop 1
	v_mov_b32_dpp v40, v8 row_bcast:15 row_mask:0xf bank_mask:0xf
	v_cndmask_b32_e64 v40, v40, 0, s[12:13]
	v_add_u32_e32 v8, v8, v40
	s_nop 1
	v_mov_b32_dpp v40, v8 row_bcast:31 row_mask:0xf bank_mask:0xf
	v_cndmask_b32_e64 v40, 0, v40, s[10:11]
	v_add_u32_e32 v44, v8, v40
	s_and_saveexec_b64 s[24:25], s[14:15]
; %bb.46:
	ds_write_b32 v17, v44 offset:7488
; %bb.47:
	s_or_b64 exec, exec, s[24:25]
	s_waitcnt lgkmcnt(0)
	s_barrier
	s_and_saveexec_b64 s[24:25], s[4:5]
	s_cbranch_execz .LBB8_49
; %bb.48:
	ds_read_b32 v8, v19 offset:7488
	s_waitcnt lgkmcnt(0)
	s_nop 0
	v_mov_b32_dpp v40, v8 row_shr:1 row_mask:0xf bank_mask:0xf
	v_cndmask_b32_e64 v40, v40, 0, s[8:9]
	v_add_u32_e32 v8, v40, v8
	s_nop 1
	v_mov_b32_dpp v40, v8 row_shr:2 row_mask:0xf bank_mask:0xf
	v_cndmask_b32_e64 v40, 0, v40, s[6:7]
	v_add_u32_e32 v8, v8, v40
	ds_write_b32 v19, v8 offset:7488
.LBB8_49:
	s_or_b64 exec, exec, s[24:25]
	v_lshrrev_b32_e32 v43, 16, v1
	v_lshrrev_b32_e32 v42, 16, v2
	;; [unrolled: 1-line block ×4, first 2 shown]
	v_mov_b32_e32 v8, 0
	v_mov_b32_e32 v45, 0
	s_waitcnt lgkmcnt(0)
	s_barrier
	s_and_saveexec_b64 s[24:25], s[2:3]
; %bb.50:
	ds_read_b32 v45, v17 offset:7484
; %bb.51:
	s_or_b64 exec, exec, s[24:25]
	s_waitcnt lgkmcnt(0)
	v_add_u32_e32 v44, v45, v44
	ds_bpermute_b32 v44, v18, v44
	ds_read_b32 v46, v8 offset:7500
	s_waitcnt lgkmcnt(1)
	v_cndmask_b32_e64 v44, v44, v45, s[0:1]
	s_waitcnt lgkmcnt(0)
	v_lshl_add_u32 v44, v46, 16, v44
	v_add_u32_e32 v45, v44, v9
	v_add_u32_e32 v9, v45, v10
	v_add_u32_e32 v10, v9, v11
	v_add_u32_e32 v11, v10, v12
	v_add_u32_e32 v12, v11, v5
	v_add_u32_e32 v5, v12, v6
	v_add_u32_e32 v6, v5, v7
	ds_write2_b64 v16, v[44:45], v[9:10] offset1:1
	ds_write2_b64 v16, v[11:12], v[5:6] offset0:2 offset1:3
	s_waitcnt lgkmcnt(0)
	s_barrier
	ds_read_u16 v5, v25
	ds_read_u16 v6, v27
	;; [unrolled: 1-line block ×9, first 2 shown]
	v_mov_b32_e32 v30, 1
	v_lshlrev_b32_sdwa v22, v30, v22 dst_sel:DWORD dst_unused:UNUSED_PAD src0_sel:DWORD src1_sel:WORD_0
	s_waitcnt lgkmcnt(8)
	v_lshl_add_u32 v5, v5, 1, v22
	s_waitcnt lgkmcnt(0)
	s_barrier
	ds_write_b16 v5, v1
	v_lshlrev_b32_sdwa v1, v30, v23 dst_sel:DWORD dst_unused:UNUSED_PAD src0_sel:DWORD src1_sel:WORD_0
	v_lshl_add_u32 v1, v6, 1, v1
	ds_write_b16 v1, v43
	v_lshlrev_b32_sdwa v1, v30, v24 dst_sel:DWORD dst_unused:UNUSED_PAD src0_sel:DWORD src1_sel:WORD_0
	v_lshl_add_u32 v1, v7, 1, v1
	;; [unrolled: 3-line block ×8, first 2 shown]
	ds_write_b16 v1, v21
	s_waitcnt lgkmcnt(0)
	s_barrier
	ds_read_b128 v[1:4], v15
	ds_read_u16 v21, v15 offset:16
	v_add_u32_e32 v5, 0x700, v20
	s_waitcnt lgkmcnt(0)
	s_barrier
	ds_write2_b32 v20, v8, v8 offset1:234
	ds_write2_b32 v5, v8, v8 offset0:20 offset1:254
	s_and_saveexec_b64 s[24:25], vcc
	s_cbranch_execz .LBB8_56
; %bb.52:
	s_movk_i32 s26, 0x2be
	v_mov_b32_e32 v5, 0
	v_cmp_gt_u32_e32 vcc, s26, v0
	ds_write_b32 v20, v5 offset:3744
	s_and_b64 exec, exec, vcc
	s_cbranch_execz .LBB8_56
; %bb.53:
	s_movk_i32 s26, 0x1d4
	v_cmp_gt_u32_e32 vcc, s26, v0
	ds_write_b32 v20, v5 offset:4680
	s_and_b64 exec, exec, vcc
	s_cbranch_execz .LBB8_56
; %bb.54:
	s_movk_i32 s26, 0xea
	v_mov_b32_e32 v5, 0
	v_cmp_gt_u32_e32 vcc, s26, v0
	ds_write_b32 v20, v5 offset:5616
	s_and_b64 exec, exec, vcc
; %bb.55:
	ds_write_b32 v20, v5 offset:6552
.LBB8_56:
	s_or_b64 exec, exec, s[24:25]
	v_lshrrev_b16_e32 v5, 12, v1
	v_and_b32_e32 v6, 7, v5
	s_movk_i32 s24, 0xea
	v_lshrrev_b32_e32 v5, 2, v5
	v_mad_u32_u24 v6, v6, s24, v0
	v_and_b32_e32 v5, 2, v5
	v_lshl_or_b32 v22, v6, 2, v5
	ds_read_u16 v20, v22
	v_bfe_u32 v5, v1, 28, 3
	v_mad_u32_u24 v5, v5, s24, v0
	s_waitcnt lgkmcnt(0)
	v_add_u16_e32 v6, 1, v20
	ds_write_b16 v22, v6
	v_lshrrev_b32_e32 v6, 30, v1
	v_and_b32_e32 v6, 2, v6
	v_lshl_or_b32 v25, v5, 2, v6
	ds_read_u16 v23, v25
	s_waitcnt lgkmcnt(0)
	v_add_u16_e32 v5, 1, v23
	ds_write_b16 v25, v5
	v_lshrrev_b16_e32 v5, 12, v2
	v_and_b32_e32 v6, 7, v5
	v_lshrrev_b32_e32 v5, 2, v5
	v_mad_u32_u24 v6, v6, s24, v0
	v_and_b32_e32 v5, 2, v5
	v_lshl_or_b32 v28, v6, 2, v5
	ds_read_u16 v24, v28
	v_lshrrev_b32_e32 v6, 30, v2
	v_and_b32_e32 v6, 2, v6
	s_waitcnt lgkmcnt(0)
	v_add_u16_e32 v5, 1, v24
	ds_write_b16 v28, v5
	v_bfe_u32 v5, v2, 28, 3
	v_mad_u32_u24 v5, v5, s24, v0
	v_lshl_or_b32 v30, v5, 2, v6
	ds_read_u16 v26, v30
	s_waitcnt lgkmcnt(0)
	v_add_u16_e32 v5, 1, v26
	ds_write_b16 v30, v5
	v_lshrrev_b16_e32 v5, 12, v3
	v_and_b32_e32 v6, 7, v5
	v_lshrrev_b32_e32 v5, 2, v5
	v_mad_u32_u24 v6, v6, s24, v0
	v_and_b32_e32 v5, 2, v5
	v_lshl_or_b32 v33, v6, 2, v5
	ds_read_u16 v27, v33
	v_lshrrev_b32_e32 v6, 30, v3
	v_and_b32_e32 v6, 2, v6
	s_waitcnt lgkmcnt(0)
	v_add_u16_e32 v5, 1, v27
	ds_write_b16 v33, v5
	v_bfe_u32 v5, v3, 28, 3
	v_mad_u32_u24 v5, v5, s24, v0
	;; [unrolled: 19-line block ×3, first 2 shown]
	v_lshl_or_b32 v36, v5, 2, v6
	ds_read_u16 v32, v36
	s_waitcnt lgkmcnt(0)
	v_add_u16_e32 v5, 1, v32
	ds_write_b16 v36, v5
	v_lshrrev_b16_e32 v5, 12, v21
	v_and_b32_e32 v6, 7, v5
	v_lshrrev_b32_e32 v5, 2, v5
	v_mad_u32_u24 v0, v6, s24, v0
	v_and_b32_e32 v5, 2, v5
	v_lshl_or_b32 v37, v0, 2, v5
	ds_read_u16 v0, v37
	s_waitcnt lgkmcnt(0)
	v_add_u16_e32 v5, 1, v0
	ds_write_b16 v37, v5
	s_waitcnt lgkmcnt(0)
	s_barrier
	ds_read2_b64 v[9:12], v16 offset1:1
	ds_read2_b64 v[5:8], v16 offset0:2 offset1:3
	s_waitcnt lgkmcnt(1)
	v_add_u32_e32 v38, v10, v9
	v_add3_u32 v38, v38, v11, v12
	s_waitcnt lgkmcnt(0)
	v_add3_u32 v38, v38, v5, v6
	v_add3_u32 v8, v38, v7, v8
	s_nop 1
	v_mov_b32_dpp v38, v8 row_shr:1 row_mask:0xf bank_mask:0xf
	v_cndmask_b32_e64 v38, v38, 0, s[22:23]
	v_add_u32_e32 v8, v38, v8
	s_nop 1
	v_mov_b32_dpp v38, v8 row_shr:2 row_mask:0xf bank_mask:0xf
	v_cndmask_b32_e64 v38, 0, v38, s[20:21]
	v_add_u32_e32 v8, v8, v38
	;; [unrolled: 4-line block ×4, first 2 shown]
	s_nop 1
	v_mov_b32_dpp v38, v8 row_bcast:15 row_mask:0xf bank_mask:0xf
	v_cndmask_b32_e64 v38, v38, 0, s[12:13]
	v_add_u32_e32 v8, v8, v38
	s_nop 1
	v_mov_b32_dpp v38, v8 row_bcast:31 row_mask:0xf bank_mask:0xf
	v_cndmask_b32_e64 v38, 0, v38, s[10:11]
	v_add_u32_e32 v40, v8, v38
	s_and_saveexec_b64 s[10:11], s[14:15]
; %bb.57:
	ds_write_b32 v17, v40 offset:7488
; %bb.58:
	s_or_b64 exec, exec, s[10:11]
	s_waitcnt lgkmcnt(0)
	s_barrier
	s_and_saveexec_b64 s[10:11], s[4:5]
	s_cbranch_execz .LBB8_60
; %bb.59:
	ds_read_b32 v8, v19 offset:7488
	s_waitcnt lgkmcnt(0)
	s_nop 0
	v_mov_b32_dpp v38, v8 row_shr:1 row_mask:0xf bank_mask:0xf
	v_cndmask_b32_e64 v38, v38, 0, s[8:9]
	v_add_u32_e32 v8, v38, v8
	s_nop 1
	v_mov_b32_dpp v38, v8 row_shr:2 row_mask:0xf bank_mask:0xf
	v_cndmask_b32_e64 v38, 0, v38, s[6:7]
	v_add_u32_e32 v8, v8, v38
	ds_write_b32 v19, v8 offset:7488
.LBB8_60:
	s_or_b64 exec, exec, s[10:11]
	v_lshrrev_b32_e32 v39, 16, v1
	v_lshrrev_b32_e32 v38, 16, v2
	;; [unrolled: 1-line block ×4, first 2 shown]
	v_mov_b32_e32 v41, 0
	v_mov_b32_e32 v42, 0
	s_waitcnt lgkmcnt(0)
	s_barrier
	s_and_saveexec_b64 s[4:5], s[2:3]
; %bb.61:
	ds_read_b32 v42, v17 offset:7484
; %bb.62:
	s_or_b64 exec, exec, s[4:5]
	s_waitcnt lgkmcnt(0)
	v_add_u32_e32 v17, v42, v40
	ds_bpermute_b32 v17, v18, v17
	ds_read_b32 v18, v41 offset:7500
	s_waitcnt lgkmcnt(1)
	v_cndmask_b32_e64 v17, v17, v42, s[0:1]
	s_waitcnt lgkmcnt(0)
	v_lshl_add_u32 v17, v18, 16, v17
	v_add_u32_e32 v18, v17, v9
	v_add_u32_e32 v9, v18, v10
	;; [unrolled: 1-line block ×7, first 2 shown]
	ds_write2_b64 v16, v[17:18], v[9:10] offset1:1
	ds_write2_b64 v16, v[11:12], v[5:6] offset0:2 offset1:3
	s_waitcnt lgkmcnt(0)
	s_barrier
	ds_read_u16 v5, v37
	ds_read_u16 v6, v36
	;; [unrolled: 1-line block ×9, first 2 shown]
	v_mov_b32_e32 v18, 1
	v_lshlrev_b32_sdwa v20, v18, v20 dst_sel:DWORD dst_unused:UNUSED_PAD src0_sel:DWORD src1_sel:WORD_0
	s_waitcnt lgkmcnt(0)
	s_barrier
	v_lshl_add_u32 v17, v17, 1, v20
	ds_write_b16 v17, v1
	v_lshlrev_b32_sdwa v1, v18, v23 dst_sel:DWORD dst_unused:UNUSED_PAD src0_sel:DWORD src1_sel:WORD_0
	v_lshl_add_u32 v1, v16, 1, v1
	ds_write_b16 v1, v39
	v_lshlrev_b32_sdwa v1, v18, v24 dst_sel:DWORD dst_unused:UNUSED_PAD src0_sel:DWORD src1_sel:WORD_0
	;; [unrolled: 3-line block ×7, first 2 shown]
	v_lshlrev_b32_sdwa v0, v18, v0 dst_sel:DWORD dst_unused:UNUSED_PAD src0_sel:DWORD src1_sel:WORD_0
	v_lshl_add_u32 v1, v6, 1, v1
	v_lshl_add_u32 v0, v5, 1, v0
	ds_write_b16 v1, v8
	ds_write_b16 v0, v21
	s_waitcnt lgkmcnt(0)
	s_barrier
.LBB8_63:
	ds_read_u16 v4, v15 offset:16
	ds_read_b128 v[0:3], v15
	s_waitcnt lgkmcnt(1)
	v_xor_b32_e32 v4, 0xffff8000, v4
	s_waitcnt lgkmcnt(0)
	v_xor_b32_e32 v0, 0x80008000, v0
	v_xor_b32_e32 v1, 0x80008000, v1
	;; [unrolled: 1-line block ×4, first 2 shown]
	global_store_dwordx4 v[13:14], v[0:3], off
	global_store_short v[13:14], v4, off offset:16
	s_endpgm
	.section	.rodata,"a",@progbits
	.p2align	6, 0x0
	.amdhsa_kernel _Z15sort_key_kernelILj234ELj9ELb0ELb0EsEvPT3_jj
		.amdhsa_group_segment_fixed_size 7504
		.amdhsa_private_segment_fixed_size 0
		.amdhsa_kernarg_size 16
		.amdhsa_user_sgpr_count 6
		.amdhsa_user_sgpr_private_segment_buffer 1
		.amdhsa_user_sgpr_dispatch_ptr 0
		.amdhsa_user_sgpr_queue_ptr 0
		.amdhsa_user_sgpr_kernarg_segment_ptr 1
		.amdhsa_user_sgpr_dispatch_id 0
		.amdhsa_user_sgpr_flat_scratch_init 0
		.amdhsa_user_sgpr_private_segment_size 0
		.amdhsa_uses_dynamic_stack 0
		.amdhsa_system_sgpr_private_segment_wavefront_offset 0
		.amdhsa_system_sgpr_workgroup_id_x 1
		.amdhsa_system_sgpr_workgroup_id_y 0
		.amdhsa_system_sgpr_workgroup_id_z 0
		.amdhsa_system_sgpr_workgroup_info 0
		.amdhsa_system_vgpr_workitem_id 0
		.amdhsa_next_free_vgpr 58
		.amdhsa_next_free_sgpr 61
		.amdhsa_reserve_vcc 1
		.amdhsa_reserve_flat_scratch 0
		.amdhsa_float_round_mode_32 0
		.amdhsa_float_round_mode_16_64 0
		.amdhsa_float_denorm_mode_32 3
		.amdhsa_float_denorm_mode_16_64 3
		.amdhsa_dx10_clamp 1
		.amdhsa_ieee_mode 1
		.amdhsa_fp16_overflow 0
		.amdhsa_exception_fp_ieee_invalid_op 0
		.amdhsa_exception_fp_denorm_src 0
		.amdhsa_exception_fp_ieee_div_zero 0
		.amdhsa_exception_fp_ieee_overflow 0
		.amdhsa_exception_fp_ieee_underflow 0
		.amdhsa_exception_fp_ieee_inexact 0
		.amdhsa_exception_int_div_zero 0
	.end_amdhsa_kernel
	.section	.text._Z15sort_key_kernelILj234ELj9ELb0ELb0EsEvPT3_jj,"axG",@progbits,_Z15sort_key_kernelILj234ELj9ELb0ELb0EsEvPT3_jj,comdat
.Lfunc_end8:
	.size	_Z15sort_key_kernelILj234ELj9ELb0ELb0EsEvPT3_jj, .Lfunc_end8-_Z15sort_key_kernelILj234ELj9ELb0ELb0EsEvPT3_jj
                                        ; -- End function
	.set _Z15sort_key_kernelILj234ELj9ELb0ELb0EsEvPT3_jj.num_vgpr, 58
	.set _Z15sort_key_kernelILj234ELj9ELb0ELb0EsEvPT3_jj.num_agpr, 0
	.set _Z15sort_key_kernelILj234ELj9ELb0ELb0EsEvPT3_jj.numbered_sgpr, 40
	.set _Z15sort_key_kernelILj234ELj9ELb0ELb0EsEvPT3_jj.num_named_barrier, 0
	.set _Z15sort_key_kernelILj234ELj9ELb0ELb0EsEvPT3_jj.private_seg_size, 0
	.set _Z15sort_key_kernelILj234ELj9ELb0ELb0EsEvPT3_jj.uses_vcc, 1
	.set _Z15sort_key_kernelILj234ELj9ELb0ELb0EsEvPT3_jj.uses_flat_scratch, 0
	.set _Z15sort_key_kernelILj234ELj9ELb0ELb0EsEvPT3_jj.has_dyn_sized_stack, 0
	.set _Z15sort_key_kernelILj234ELj9ELb0ELb0EsEvPT3_jj.has_recursion, 0
	.set _Z15sort_key_kernelILj234ELj9ELb0ELb0EsEvPT3_jj.has_indirect_call, 0
	.section	.AMDGPU.csdata,"",@progbits
; Kernel info:
; codeLenInByte = 7880
; TotalNumSgprs: 44
; NumVgprs: 58
; ScratchSize: 0
; MemoryBound: 0
; FloatMode: 240
; IeeeMode: 1
; LDSByteSize: 7504 bytes/workgroup (compile time only)
; SGPRBlocks: 8
; VGPRBlocks: 14
; NumSGPRsForWavesPerEU: 65
; NumVGPRsForWavesPerEU: 58
; Occupancy: 4
; WaveLimiterHint : 0
; COMPUTE_PGM_RSRC2:SCRATCH_EN: 0
; COMPUTE_PGM_RSRC2:USER_SGPR: 6
; COMPUTE_PGM_RSRC2:TRAP_HANDLER: 0
; COMPUTE_PGM_RSRC2:TGID_X_EN: 1
; COMPUTE_PGM_RSRC2:TGID_Y_EN: 0
; COMPUTE_PGM_RSRC2:TGID_Z_EN: 0
; COMPUTE_PGM_RSRC2:TIDIG_COMP_CNT: 0
	.section	.text._Z15sort_key_kernelILj100ELj3ELb0ELb0EtEvPT3_jj,"axG",@progbits,_Z15sort_key_kernelILj100ELj3ELb0ELb0EtEvPT3_jj,comdat
	.protected	_Z15sort_key_kernelILj100ELj3ELb0ELb0EtEvPT3_jj ; -- Begin function _Z15sort_key_kernelILj100ELj3ELb0ELb0EtEvPT3_jj
	.globl	_Z15sort_key_kernelILj100ELj3ELb0ELb0EtEvPT3_jj
	.p2align	8
	.type	_Z15sort_key_kernelILj100ELj3ELb0ELb0EtEvPT3_jj,@function
_Z15sort_key_kernelILj100ELj3ELb0ELb0EtEvPT3_jj: ; @_Z15sort_key_kernelILj100ELj3ELb0ELb0EtEvPT3_jj
; %bb.0:
	s_load_dwordx4 s[40:43], s[4:5], 0x0
	s_mul_i32 s0, s6, 0x12c
	s_mov_b32 s1, 0
	s_lshl_b64 s[0:1], s[0:1], 1
	v_mul_u32_u24_e32 v1, 3, v0
	s_waitcnt lgkmcnt(0)
	s_add_u32 s0, s40, s0
	s_addc_u32 s1, s41, s1
	v_lshlrev_b32_e32 v1, 1, v1
	global_load_dword v18, v1, s[0:1]
	global_load_ushort v17, v1, s[0:1] offset:4
	v_add_co_u32_e32 v9, vcc, s0, v1
	v_mbcnt_lo_u32_b32 v1, -1, 0
	v_mov_b32_e32 v2, s1
	v_mbcnt_hi_u32_b32 v1, -1, v1
	v_addc_co_u32_e32 v10, vcc, 0, v2, vcc
	v_and_b32_e32 v2, 15, v1
	s_cmp_eq_u32 s42, 0
	v_cmp_eq_u32_e64 s[20:21], 0, v2
	v_cmp_lt_u32_e64 s[18:19], 1, v2
	v_cmp_lt_u32_e64 s[16:17], 3, v2
	;; [unrolled: 1-line block ×3, first 2 shown]
	v_and_b32_e32 v2, 16, v1
	s_cselect_b64 s[0:1], -1, 0
	s_cmp_eq_u32 s43, 16
	v_cmp_eq_u32_e64 s[12:13], 0, v2
	v_and_b32_e32 v2, 64, v0
	s_cselect_b64 s[2:3], -1, 0
	v_min_u32_e32 v2, 36, v2
	s_and_b64 s[26:27], s[0:1], s[2:3]
	s_movk_i32 s0, 0x320
	v_add_u32_e32 v2, 63, v2
	v_cmp_gt_u32_e64 s[22:23], s0, v0
	v_cmp_eq_u32_e64 s[10:11], v0, v2
	v_subrev_co_u32_e64 v2, s[0:1], 1, v1
	v_and_b32_e32 v3, 64, v1
	v_cmp_lt_i32_e32 vcc, v2, v3
	v_lshlrev_b32_e32 v11, 5, v0
	v_cndmask_b32_e32 v2, v2, v1, vcc
	s_movk_i32 s6, 0xffe4
	v_cmp_lt_u32_e64 s[8:9], 31, v1
	v_lshlrev_b32_e32 v13, 2, v2
	v_lshrrev_b32_e32 v2, 4, v0
	v_mad_i32_i24 v15, v0, s6, v11
	v_and_b32_e32 v1, 1, v1
	v_lshlrev_b32_e32 v20, 1, v0
	s_movk_i32 s33, 0x12c
	v_mov_b32_e32 v19, 0
	v_cmp_gt_u32_e64 s[4:5], 2, v0
	v_cmp_lt_u32_e64 s[2:3], 63, v0
	v_and_b32_e32 v14, 4, v2
	v_cmp_eq_u32_e64 s[6:7], 0, v1
	v_add_u32_e32 v12, v15, v20
	s_mov_b64 s[24:25], -1
	s_and_b64 vcc, exec, s[26:27]
	v_lshlrev_b32_e32 v16, 2, v0
	s_cbranch_vccnz .LBB9_21
; %bb.1:
	v_cmp_gt_u32_e64 s[34:35], s33, v0
	s_movk_i32 s33, 0xc8
	s_movk_i32 s24, 0x2bc
	;; [unrolled: 1-line block ×5, first 2 shown]
	v_cmp_gt_u32_e64 s[36:37], s33, v0
	s_movk_i32 s33, 0x64
	v_cmp_gt_u32_e64 s[24:25], s24, v0
	v_cmp_gt_u32_e64 s[26:27], s26, v0
	;; [unrolled: 1-line block ×5, first 2 shown]
	s_sub_i32 s44, s43, s42
	v_mov_b32_e32 v21, 1
	s_waitcnt vmcnt(1)
	v_mov_b32_e32 v23, v18
	s_waitcnt vmcnt(0)
	v_mov_b32_e32 v5, v17
	s_branch .LBB9_3
.LBB9_2:                                ;   in Loop: Header=BB9_3 Depth=1
	s_andn2_b64 vcc, exec, s[40:41]
	s_cbranch_vccz .LBB9_20
.LBB9_3:                                ; =>This Inner Loop Header: Depth=1
	v_mov_b32_e32 v22, v5
	s_and_saveexec_b64 s[40:41], s[22:23]
	s_cbranch_execz .LBB9_12
; %bb.4:                                ;   in Loop: Header=BB9_3 Depth=1
	ds_write_b32 v16, v19
	s_and_b64 exec, exec, s[24:25]
	s_cbranch_execz .LBB9_12
; %bb.5:                                ;   in Loop: Header=BB9_3 Depth=1
	ds_write_b32 v16, v19 offset:400
	s_and_b64 exec, exec, s[26:27]
	s_cbranch_execz .LBB9_12
; %bb.6:                                ;   in Loop: Header=BB9_3 Depth=1
	ds_write_b32 v16, v19 offset:800
	;; [unrolled: 4-line block ×5, first 2 shown]
	s_and_b64 exec, exec, s[36:37]
	s_cbranch_execz .LBB9_12
; %bb.10:                               ;   in Loop: Header=BB9_3 Depth=1
	ds_write_b32 v16, v19 offset:2400
	s_and_b64 exec, exec, s[38:39]
; %bb.11:                               ;   in Loop: Header=BB9_3 Depth=1
	ds_write_b32 v16, v19 offset:2800
.LBB9_12:                               ;   in Loop: Header=BB9_3 Depth=1
	s_or_b64 exec, exec, s[40:41]
	s_min_u32 s40, s44, 4
	s_lshl_b32 s40, -1, s40
	s_not_b32 s40, s40
	v_lshrrev_b32_sdwa v1, s42, v23 dst_sel:DWORD dst_unused:UNUSED_PAD src0_sel:DWORD src1_sel:WORD_0
	v_and_b32_e32 v1, s40, v1
	v_and_b32_e32 v2, 7, v1
	v_lshrrev_b32_e32 v1, 2, v1
	v_mad_u32_u24 v2, v2, s33, v0
	v_and_b32_e32 v1, 30, v1
	v_lshl_add_u32 v26, v2, 2, v1
	ds_read_u16 v25, v26
	v_lshrrev_b32_e32 v24, 16, v23
	s_waitcnt lgkmcnt(0)
	v_add_u16_e32 v1, 1, v25
	ds_write_b16 v26, v1
	v_lshrrev_b32_e32 v1, s42, v24
	v_and_b32_e32 v1, s40, v1
	v_and_b32_e32 v2, 7, v1
	v_lshrrev_b32_e32 v1, 2, v1
	v_mad_u32_u24 v2, v2, s33, v0
	v_and_b32_e32 v1, 30, v1
	v_lshl_add_u32 v28, v2, 2, v1
	ds_read_u16 v27, v28
	s_waitcnt lgkmcnt(0)
	v_add_u16_e32 v1, 1, v27
	ds_write_b16 v28, v1
	v_lshrrev_b32_sdwa v1, s42, v22 dst_sel:DWORD dst_unused:UNUSED_PAD src0_sel:DWORD src1_sel:WORD_0
	v_and_b32_e32 v1, s40, v1
	v_and_b32_e32 v2, 7, v1
	v_lshrrev_b32_e32 v1, 2, v1
	v_mad_u32_u24 v2, v2, s33, v0
	v_and_b32_e32 v1, 30, v1
	v_lshl_add_u32 v30, v2, 2, v1
	ds_read_u16 v29, v30
	s_waitcnt lgkmcnt(0)
	v_add_u16_e32 v1, 1, v29
	ds_write_b16 v30, v1
	s_waitcnt lgkmcnt(0)
	s_barrier
	ds_read2_b64 v[5:8], v11 offset1:1
	ds_read2_b64 v[1:4], v11 offset0:2 offset1:3
	s_waitcnt lgkmcnt(1)
	v_add_u32_e32 v31, v6, v5
	v_add3_u32 v31, v31, v7, v8
	s_waitcnt lgkmcnt(0)
	v_add3_u32 v31, v31, v1, v2
	v_add3_u32 v4, v31, v3, v4
	s_nop 1
	v_mov_b32_dpp v31, v4 row_shr:1 row_mask:0xf bank_mask:0xf
	v_cndmask_b32_e64 v31, v31, 0, s[20:21]
	v_add_u32_e32 v4, v31, v4
	s_nop 1
	v_mov_b32_dpp v31, v4 row_shr:2 row_mask:0xf bank_mask:0xf
	v_cndmask_b32_e64 v31, 0, v31, s[18:19]
	v_add_u32_e32 v4, v4, v31
	;; [unrolled: 4-line block ×4, first 2 shown]
	s_nop 1
	v_mov_b32_dpp v31, v4 row_bcast:15 row_mask:0xf bank_mask:0xf
	v_cndmask_b32_e64 v31, v31, 0, s[12:13]
	v_add_u32_e32 v4, v4, v31
	s_nop 1
	v_mov_b32_dpp v31, v4 row_bcast:31 row_mask:0xf bank_mask:0xf
	v_cndmask_b32_e64 v31, 0, v31, s[8:9]
	v_add_u32_e32 v4, v4, v31
	s_and_saveexec_b64 s[40:41], s[10:11]
; %bb.13:                               ;   in Loop: Header=BB9_3 Depth=1
	ds_write_b32 v14, v4 offset:3200
; %bb.14:                               ;   in Loop: Header=BB9_3 Depth=1
	s_or_b64 exec, exec, s[40:41]
	s_waitcnt lgkmcnt(0)
	s_barrier
	s_and_saveexec_b64 s[40:41], s[4:5]
	s_cbranch_execz .LBB9_16
; %bb.15:                               ;   in Loop: Header=BB9_3 Depth=1
	ds_read_b32 v31, v15 offset:3200
	s_waitcnt lgkmcnt(0)
	s_nop 0
	v_mov_b32_dpp v32, v31 row_shr:1 row_mask:0xf bank_mask:0xf
	v_cndmask_b32_e64 v32, v32, 0, s[6:7]
	v_add_u32_e32 v31, v32, v31
	ds_write_b32 v15, v31 offset:3200
.LBB9_16:                               ;   in Loop: Header=BB9_3 Depth=1
	s_or_b64 exec, exec, s[40:41]
	v_mov_b32_e32 v31, 0
	s_waitcnt lgkmcnt(0)
	s_barrier
	s_and_saveexec_b64 s[40:41], s[2:3]
; %bb.17:                               ;   in Loop: Header=BB9_3 Depth=1
	ds_read_b32 v31, v14 offset:3196
; %bb.18:                               ;   in Loop: Header=BB9_3 Depth=1
	s_or_b64 exec, exec, s[40:41]
	s_waitcnt lgkmcnt(0)
	v_add_u32_e32 v4, v31, v4
	ds_bpermute_b32 v32, v13, v4
	ds_read_b32 v33, v19 offset:3204
	s_add_i32 s42, s42, 4
	v_mov_b32_e32 v4, v23
	s_cmp_ge_u32 s42, s43
	s_waitcnt lgkmcnt(1)
	v_cndmask_b32_e64 v31, v32, v31, s[0:1]
	s_waitcnt lgkmcnt(0)
	v_lshl_add_u32 v31, v33, 16, v31
	v_add_u32_e32 v32, v31, v5
	v_add_u32_e32 v5, v32, v6
	;; [unrolled: 1-line block ×7, first 2 shown]
	ds_write2_b64 v11, v[31:32], v[5:6] offset1:1
	ds_write2_b64 v11, v[7:8], v[1:2] offset0:2 offset1:3
	s_waitcnt lgkmcnt(0)
	s_barrier
	ds_read_u16 v1, v26
	ds_read_u16 v2, v28
	;; [unrolled: 1-line block ×3, first 2 shown]
	v_lshlrev_b32_sdwa v5, v21, v25 dst_sel:DWORD dst_unused:UNUSED_PAD src0_sel:DWORD src1_sel:WORD_0
	s_mov_b64 s[40:41], -1
	s_waitcnt lgkmcnt(2)
	v_lshl_add_u32 v1, v1, 1, v5
	v_lshlrev_b32_sdwa v5, v21, v27 dst_sel:DWORD dst_unused:UNUSED_PAD src0_sel:DWORD src1_sel:WORD_0
	s_waitcnt lgkmcnt(1)
	v_lshl_add_u32 v2, v2, 1, v5
	v_lshlrev_b32_sdwa v5, v21, v29 dst_sel:DWORD dst_unused:UNUSED_PAD src0_sel:DWORD src1_sel:WORD_0
	s_waitcnt lgkmcnt(0)
	v_lshl_add_u32 v3, v3, 1, v5
                                        ; implicit-def: $vgpr5
	s_cbranch_scc1 .LBB9_2
; %bb.19:                               ;   in Loop: Header=BB9_3 Depth=1
	s_barrier
	ds_write_b16 v1, v23
	ds_write_b16 v2, v24
	;; [unrolled: 1-line block ×3, first 2 shown]
	s_waitcnt lgkmcnt(0)
	s_barrier
	ds_read_b32 v23, v12
	ds_read_u16 v5, v12 offset:4
	s_add_i32 s44, s44, -4
	s_mov_b64 s[40:41], 0
	s_waitcnt lgkmcnt(0)
	s_barrier
	s_branch .LBB9_2
.LBB9_20:
	s_mov_b64 s[24:25], 0
	s_barrier
	ds_write_b16 v1, v4
	ds_write_b16 v2, v24
	;; [unrolled: 1-line block ×3, first 2 shown]
	s_waitcnt lgkmcnt(0)
	s_barrier
.LBB9_21:
	s_and_b64 vcc, exec, s[24:25]
	s_cbranch_vccz .LBB9_83
; %bb.22:
	s_and_saveexec_b64 s[24:25], s[22:23]
	s_cbranch_execz .LBB9_31
; %bb.23:
	s_movk_i32 s26, 0x2bc
	v_mov_b32_e32 v2, 0
	v_sub_u32_e32 v1, v12, v20
	v_cmp_gt_u32_e32 vcc, s26, v0
	ds_write_b32 v1, v2
	s_and_b64 exec, exec, vcc
	s_cbranch_execz .LBB9_31
; %bb.24:
	v_sub_u32_e32 v1, 0, v20
	s_movk_i32 s26, 0x258
	v_add_u32_e32 v1, v12, v1
	v_cmp_gt_u32_e32 vcc, s26, v0
	ds_write_b32 v1, v2 offset:400
	s_and_b64 exec, exec, vcc
	s_cbranch_execz .LBB9_31
; %bb.25:
	s_movk_i32 s26, 0x1f4
	v_mov_b32_e32 v2, 0
	v_cmp_gt_u32_e32 vcc, s26, v0
	ds_write_b32 v1, v2 offset:800
	s_and_b64 exec, exec, vcc
	s_cbranch_execz .LBB9_31
; %bb.26:
	s_movk_i32 s26, 0x190
	v_cmp_gt_u32_e32 vcc, s26, v0
	ds_write_b32 v1, v2 offset:1200
	s_and_b64 exec, exec, vcc
	s_cbranch_execz .LBB9_31
; %bb.27:
	s_movk_i32 s26, 0x12c
	v_mov_b32_e32 v2, 0
	v_cmp_gt_u32_e32 vcc, s26, v0
	ds_write_b32 v1, v2 offset:1600
	s_and_b64 exec, exec, vcc
	s_cbranch_execz .LBB9_31
; %bb.28:
	s_movk_i32 s26, 0xc8
	v_cmp_gt_u32_e32 vcc, s26, v0
	ds_write_b32 v1, v2 offset:2000
	s_and_b64 exec, exec, vcc
	s_cbranch_execz .LBB9_31
; %bb.29:
	s_movk_i32 s26, 0x64
	v_mov_b32_e32 v2, 0
	v_cmp_gt_u32_e32 vcc, s26, v0
	ds_write_b32 v1, v2 offset:2400
	s_and_b64 exec, exec, vcc
; %bb.30:
	ds_write_b32 v1, v2 offset:2800
.LBB9_31:
	s_or_b64 exec, exec, s[24:25]
	s_waitcnt vmcnt(1)
	v_and_b32_e32 v1, 7, v18
	s_movk_i32 s24, 0x64
	v_lshrrev_b32_e32 v2, 2, v18
	v_mad_u32_u24 v1, v1, s24, v0
	v_and_b32_e32 v2, 2, v2
	v_lshl_or_b32 v20, v1, 2, v2
	ds_read_u16 v19, v20
	v_bfe_u32 v1, v18, 16, 3
	v_mad_u32_u24 v1, v1, s24, v0
	s_waitcnt lgkmcnt(0)
	v_add_u16_e32 v2, 1, v19
	ds_write_b16 v20, v2
	v_lshrrev_b32_e32 v2, 18, v18
	v_and_b32_e32 v2, 2, v2
	v_lshl_or_b32 v23, v1, 2, v2
	ds_read_u16 v21, v23
	v_mov_b32_e32 v2, 2
	s_waitcnt vmcnt(0)
	v_lshrrev_b32_sdwa v2, v2, v17 dst_sel:DWORD dst_unused:UNUSED_PAD src0_sel:DWORD src1_sel:WORD_0
	v_and_b32_e32 v2, 2, v2
	s_waitcnt lgkmcnt(0)
	v_add_u16_e32 v1, 1, v21
	ds_write_b16 v23, v1
	v_mov_b32_e32 v1, 7
	v_and_b32_sdwa v1, v17, v1 dst_sel:DWORD dst_unused:UNUSED_PAD src0_sel:WORD_0 src1_sel:DWORD
	v_mad_u32_u24 v1, v1, s24, v0
	v_lshl_or_b32 v24, v1, 2, v2
	ds_read_u16 v22, v24
	s_waitcnt lgkmcnt(0)
	v_add_u16_e32 v1, 1, v22
	ds_write_b16 v24, v1
	s_waitcnt lgkmcnt(0)
	s_barrier
	ds_read2_b64 v[5:8], v11 offset1:1
	ds_read2_b64 v[1:4], v11 offset0:2 offset1:3
	s_waitcnt lgkmcnt(1)
	v_add_u32_e32 v25, v6, v5
	v_add3_u32 v25, v25, v7, v8
	s_waitcnt lgkmcnt(0)
	v_add3_u32 v25, v25, v1, v2
	v_add3_u32 v4, v25, v3, v4
	s_nop 1
	v_mov_b32_dpp v25, v4 row_shr:1 row_mask:0xf bank_mask:0xf
	v_cndmask_b32_e64 v25, v25, 0, s[20:21]
	v_add_u32_e32 v4, v25, v4
	s_nop 1
	v_mov_b32_dpp v25, v4 row_shr:2 row_mask:0xf bank_mask:0xf
	v_cndmask_b32_e64 v25, 0, v25, s[18:19]
	v_add_u32_e32 v4, v4, v25
	;; [unrolled: 4-line block ×4, first 2 shown]
	s_nop 1
	v_mov_b32_dpp v25, v4 row_bcast:15 row_mask:0xf bank_mask:0xf
	v_cndmask_b32_e64 v25, v25, 0, s[12:13]
	v_add_u32_e32 v4, v4, v25
	s_nop 1
	v_mov_b32_dpp v25, v4 row_bcast:31 row_mask:0xf bank_mask:0xf
	v_cndmask_b32_e64 v25, 0, v25, s[8:9]
	v_add_u32_e32 v25, v4, v25
	s_and_saveexec_b64 s[24:25], s[10:11]
; %bb.32:
	ds_write_b32 v14, v25 offset:3200
; %bb.33:
	s_or_b64 exec, exec, s[24:25]
	s_waitcnt lgkmcnt(0)
	s_barrier
	s_and_saveexec_b64 s[24:25], s[4:5]
	s_cbranch_execz .LBB9_35
; %bb.34:
	ds_read_b32 v4, v15 offset:3200
	s_waitcnt lgkmcnt(0)
	s_nop 0
	v_mov_b32_dpp v26, v4 row_shr:1 row_mask:0xf bank_mask:0xf
	v_cndmask_b32_e64 v26, v26, 0, s[6:7]
	v_add_u32_e32 v4, v26, v4
	ds_write_b32 v15, v4 offset:3200
.LBB9_35:
	s_or_b64 exec, exec, s[24:25]
	v_lshrrev_b32_e32 v4, 16, v18
	v_mov_b32_e32 v26, 0
	v_mov_b32_e32 v27, 0
	s_waitcnt lgkmcnt(0)
	s_barrier
	s_and_saveexec_b64 s[24:25], s[2:3]
; %bb.36:
	ds_read_b32 v27, v14 offset:3196
; %bb.37:
	s_or_b64 exec, exec, s[24:25]
	s_waitcnt lgkmcnt(0)
	v_add_u32_e32 v25, v27, v25
	ds_bpermute_b32 v25, v13, v25
	ds_read_b32 v26, v26 offset:3204
	s_waitcnt lgkmcnt(1)
	v_cndmask_b32_e64 v25, v25, v27, s[0:1]
	s_waitcnt lgkmcnt(0)
	v_lshl_add_u32 v25, v26, 16, v25
	v_add_u32_e32 v26, v25, v5
	v_add_u32_e32 v5, v26, v6
	;; [unrolled: 1-line block ×7, first 2 shown]
	ds_write2_b64 v11, v[25:26], v[5:6] offset1:1
	ds_write2_b64 v11, v[7:8], v[1:2] offset0:2 offset1:3
	s_waitcnt lgkmcnt(0)
	s_barrier
	ds_read_u16 v1, v20
	ds_read_u16 v2, v23
	ds_read_u16 v3, v24
	v_mov_b32_e32 v5, 1
	v_lshlrev_b32_sdwa v6, v5, v19 dst_sel:DWORD dst_unused:UNUSED_PAD src0_sel:DWORD src1_sel:WORD_0
	s_waitcnt lgkmcnt(2)
	v_lshl_add_u32 v1, v1, 1, v6
	s_waitcnt lgkmcnt(0)
	s_barrier
	ds_write_b16 v1, v18
	v_lshlrev_b32_sdwa v1, v5, v21 dst_sel:DWORD dst_unused:UNUSED_PAD src0_sel:DWORD src1_sel:WORD_0
	v_lshl_add_u32 v1, v2, 1, v1
	ds_write_b16 v1, v4
	v_lshlrev_b32_sdwa v1, v5, v22 dst_sel:DWORD dst_unused:UNUSED_PAD src0_sel:DWORD src1_sel:WORD_0
	v_lshl_add_u32 v1, v3, 1, v1
	ds_write_b16 v1, v17
	s_waitcnt lgkmcnt(0)
	s_barrier
	ds_read_u16 v19, v12
	ds_read_u16 v18, v12 offset:2
	ds_read_u16 v17, v12 offset:4
	s_waitcnt lgkmcnt(0)
	s_barrier
	s_and_saveexec_b64 s[24:25], s[22:23]
	s_cbranch_execz .LBB9_46
; %bb.38:
	s_movk_i32 s26, 0x2bc
	v_mov_b32_e32 v1, 0
	v_cmp_gt_u32_e32 vcc, s26, v0
	ds_write_b32 v16, v1
	s_and_b64 exec, exec, vcc
	s_cbranch_execz .LBB9_46
; %bb.39:
	s_movk_i32 s26, 0x258
	v_cmp_gt_u32_e32 vcc, s26, v0
	ds_write_b32 v16, v1 offset:400
	s_and_b64 exec, exec, vcc
	s_cbranch_execz .LBB9_46
; %bb.40:
	s_movk_i32 s26, 0x1f4
	v_mov_b32_e32 v1, 0
	v_cmp_gt_u32_e32 vcc, s26, v0
	ds_write_b32 v16, v1 offset:800
	s_and_b64 exec, exec, vcc
	s_cbranch_execz .LBB9_46
; %bb.41:
	s_movk_i32 s26, 0x190
	v_cmp_gt_u32_e32 vcc, s26, v0
	ds_write_b32 v16, v1 offset:1200
	s_and_b64 exec, exec, vcc
	s_cbranch_execz .LBB9_46
; %bb.42:
	s_movk_i32 s26, 0x12c
	v_mov_b32_e32 v1, 0
	v_cmp_gt_u32_e32 vcc, s26, v0
	ds_write_b32 v16, v1 offset:1600
	s_and_b64 exec, exec, vcc
	s_cbranch_execz .LBB9_46
; %bb.43:
	s_movk_i32 s26, 0xc8
	v_cmp_gt_u32_e32 vcc, s26, v0
	ds_write_b32 v16, v1 offset:2000
	s_and_b64 exec, exec, vcc
	s_cbranch_execz .LBB9_46
; %bb.44:
	s_movk_i32 s26, 0x64
	v_mov_b32_e32 v1, 0
	v_cmp_gt_u32_e32 vcc, s26, v0
	ds_write_b32 v16, v1 offset:2400
	s_and_b64 exec, exec, vcc
; %bb.45:
	ds_write_b32 v16, v1 offset:2800
.LBB9_46:
	s_or_b64 exec, exec, s[24:25]
	v_lshrrev_b16_e32 v1, 4, v19
	v_and_b32_e32 v2, 7, v1
	s_movk_i32 s24, 0x64
	v_lshrrev_b32_e32 v1, 2, v1
	v_mad_u32_u24 v2, v2, s24, v0
	v_and_b32_e32 v1, 2, v1
	v_lshl_or_b32 v21, v2, 2, v1
	ds_read_u16 v20, v21
	v_lshrrev_b16_e32 v1, 4, v18
	s_waitcnt lgkmcnt(0)
	v_add_u16_e32 v2, 1, v20
	ds_write_b16 v21, v2
	v_and_b32_e32 v2, 7, v1
	v_lshrrev_b32_e32 v1, 2, v1
	v_mad_u32_u24 v2, v2, s24, v0
	v_and_b32_e32 v1, 2, v1
	v_lshl_or_b32 v24, v2, 2, v1
	ds_read_u16 v22, v24
	s_waitcnt lgkmcnt(0)
	v_add_u16_e32 v1, 1, v22
	ds_write_b16 v24, v1
	v_lshrrev_b16_e32 v1, 4, v17
	v_and_b32_e32 v2, 7, v1
	v_lshrrev_b32_e32 v1, 2, v1
	v_mad_u32_u24 v2, v2, s24, v0
	v_and_b32_e32 v1, 2, v1
	v_lshl_or_b32 v25, v2, 2, v1
	ds_read_u16 v23, v25
	s_waitcnt lgkmcnt(0)
	v_add_u16_e32 v1, 1, v23
	ds_write_b16 v25, v1
	s_waitcnt lgkmcnt(0)
	s_barrier
	ds_read2_b64 v[5:8], v11 offset1:1
	ds_read2_b64 v[1:4], v11 offset0:2 offset1:3
	s_waitcnt lgkmcnt(1)
	v_add_u32_e32 v26, v6, v5
	v_add3_u32 v26, v26, v7, v8
	s_waitcnt lgkmcnt(0)
	v_add3_u32 v26, v26, v1, v2
	v_add3_u32 v4, v26, v3, v4
	s_nop 1
	v_mov_b32_dpp v26, v4 row_shr:1 row_mask:0xf bank_mask:0xf
	v_cndmask_b32_e64 v26, v26, 0, s[20:21]
	v_add_u32_e32 v4, v26, v4
	s_nop 1
	v_mov_b32_dpp v26, v4 row_shr:2 row_mask:0xf bank_mask:0xf
	v_cndmask_b32_e64 v26, 0, v26, s[18:19]
	v_add_u32_e32 v4, v4, v26
	;; [unrolled: 4-line block ×4, first 2 shown]
	s_nop 1
	v_mov_b32_dpp v26, v4 row_bcast:15 row_mask:0xf bank_mask:0xf
	v_cndmask_b32_e64 v26, v26, 0, s[12:13]
	v_add_u32_e32 v4, v4, v26
	s_nop 1
	v_mov_b32_dpp v26, v4 row_bcast:31 row_mask:0xf bank_mask:0xf
	v_cndmask_b32_e64 v26, 0, v26, s[8:9]
	v_add_u32_e32 v4, v4, v26
	s_and_saveexec_b64 s[24:25], s[10:11]
; %bb.47:
	ds_write_b32 v14, v4 offset:3200
; %bb.48:
	s_or_b64 exec, exec, s[24:25]
	s_waitcnt lgkmcnt(0)
	s_barrier
	s_and_saveexec_b64 s[24:25], s[4:5]
	s_cbranch_execz .LBB9_50
; %bb.49:
	ds_read_b32 v26, v15 offset:3200
	s_waitcnt lgkmcnt(0)
	s_nop 0
	v_mov_b32_dpp v27, v26 row_shr:1 row_mask:0xf bank_mask:0xf
	v_cndmask_b32_e64 v27, v27, 0, s[6:7]
	v_add_u32_e32 v26, v27, v26
	ds_write_b32 v15, v26 offset:3200
.LBB9_50:
	s_or_b64 exec, exec, s[24:25]
	v_mov_b32_e32 v26, 0
	v_mov_b32_e32 v27, 0
	s_waitcnt lgkmcnt(0)
	s_barrier
	s_and_saveexec_b64 s[24:25], s[2:3]
; %bb.51:
	ds_read_b32 v27, v14 offset:3196
; %bb.52:
	s_or_b64 exec, exec, s[24:25]
	s_waitcnt lgkmcnt(0)
	v_add_u32_e32 v4, v27, v4
	ds_bpermute_b32 v4, v13, v4
	ds_read_b32 v26, v26 offset:3204
	s_waitcnt lgkmcnt(1)
	v_cndmask_b32_e64 v4, v4, v27, s[0:1]
	s_waitcnt lgkmcnt(0)
	v_lshl_add_u32 v4, v26, 16, v4
	v_add_u32_e32 v5, v4, v5
	v_add_u32_e32 v6, v5, v6
	v_add_u32_e32 v7, v6, v7
	v_add_u32_e32 v26, v7, v8
	v_add_u32_e32 v27, v26, v1
	v_add_u32_e32 v1, v27, v2
	v_add_u32_e32 v2, v1, v3
	ds_write2_b64 v11, v[4:5], v[6:7] offset1:1
	ds_write2_b64 v11, v[26:27], v[1:2] offset0:2 offset1:3
	s_waitcnt lgkmcnt(0)
	s_barrier
	ds_read_u16 v1, v21
	ds_read_u16 v2, v24
	;; [unrolled: 1-line block ×3, first 2 shown]
	v_mov_b32_e32 v4, 1
	v_lshlrev_b32_sdwa v5, v4, v20 dst_sel:DWORD dst_unused:UNUSED_PAD src0_sel:DWORD src1_sel:WORD_0
	s_waitcnt lgkmcnt(2)
	v_lshl_add_u32 v1, v1, 1, v5
	s_waitcnt lgkmcnt(0)
	s_barrier
	ds_write_b16 v1, v19
	v_lshlrev_b32_sdwa v1, v4, v22 dst_sel:DWORD dst_unused:UNUSED_PAD src0_sel:DWORD src1_sel:WORD_0
	v_lshl_add_u32 v1, v2, 1, v1
	ds_write_b16 v1, v18
	v_lshlrev_b32_sdwa v1, v4, v23 dst_sel:DWORD dst_unused:UNUSED_PAD src0_sel:DWORD src1_sel:WORD_0
	v_lshl_add_u32 v1, v3, 1, v1
	ds_write_b16 v1, v17
	s_waitcnt lgkmcnt(0)
	s_barrier
	ds_read_u16 v19, v12
	ds_read_u16 v18, v12 offset:2
	ds_read_u16 v17, v12 offset:4
	s_waitcnt lgkmcnt(0)
	s_barrier
	s_and_saveexec_b64 s[24:25], s[22:23]
	s_cbranch_execz .LBB9_61
; %bb.53:
	s_movk_i32 s26, 0x2bc
	v_mov_b32_e32 v1, 0
	v_cmp_gt_u32_e32 vcc, s26, v0
	ds_write_b32 v16, v1
	s_and_b64 exec, exec, vcc
	s_cbranch_execz .LBB9_61
; %bb.54:
	s_movk_i32 s26, 0x258
	v_cmp_gt_u32_e32 vcc, s26, v0
	ds_write_b32 v16, v1 offset:400
	s_and_b64 exec, exec, vcc
	s_cbranch_execz .LBB9_61
; %bb.55:
	s_movk_i32 s26, 0x1f4
	v_mov_b32_e32 v1, 0
	v_cmp_gt_u32_e32 vcc, s26, v0
	ds_write_b32 v16, v1 offset:800
	s_and_b64 exec, exec, vcc
	s_cbranch_execz .LBB9_61
; %bb.56:
	s_movk_i32 s26, 0x190
	v_cmp_gt_u32_e32 vcc, s26, v0
	ds_write_b32 v16, v1 offset:1200
	s_and_b64 exec, exec, vcc
	s_cbranch_execz .LBB9_61
; %bb.57:
	s_movk_i32 s26, 0x12c
	v_mov_b32_e32 v1, 0
	v_cmp_gt_u32_e32 vcc, s26, v0
	ds_write_b32 v16, v1 offset:1600
	;; [unrolled: 13-line block ×3, first 2 shown]
	s_and_b64 exec, exec, vcc
; %bb.60:
	ds_write_b32 v16, v1 offset:2800
.LBB9_61:
	s_or_b64 exec, exec, s[24:25]
	v_mov_b32_e32 v1, 7
	v_mov_b32_e32 v3, 2
	v_and_b32_sdwa v2, v19, v1 dst_sel:DWORD dst_unused:UNUSED_PAD src0_sel:BYTE_1 src1_sel:DWORD
	s_movk_i32 s24, 0x64
	v_lshrrev_b32_sdwa v4, v3, v19 dst_sel:DWORD dst_unused:UNUSED_PAD src0_sel:DWORD src1_sel:BYTE_1
	v_mad_u32_u24 v2, v2, s24, v0
	v_and_b32_e32 v4, 2, v4
	v_lshl_or_b32 v22, v2, 2, v4
	ds_read_u16 v20, v22
	v_lshrrev_b32_sdwa v4, v3, v18 dst_sel:DWORD dst_unused:UNUSED_PAD src0_sel:DWORD src1_sel:BYTE_1
	v_and_b32_e32 v4, 2, v4
	s_waitcnt lgkmcnt(0)
	v_add_u16_e32 v2, 1, v20
	ds_write_b16 v22, v2
	v_and_b32_sdwa v2, v18, v1 dst_sel:DWORD dst_unused:UNUSED_PAD src0_sel:BYTE_1 src1_sel:DWORD
	v_mad_u32_u24 v2, v2, s24, v0
	v_lshl_or_b32 v24, v2, 2, v4
	ds_read_u16 v21, v24
	v_and_b32_sdwa v1, v17, v1 dst_sel:DWORD dst_unused:UNUSED_PAD src0_sel:BYTE_1 src1_sel:DWORD
	v_mad_u32_u24 v1, v1, s24, v0
	s_waitcnt lgkmcnt(0)
	v_add_u16_e32 v2, 1, v21
	ds_write_b16 v24, v2
	v_lshrrev_b32_sdwa v2, v3, v17 dst_sel:DWORD dst_unused:UNUSED_PAD src0_sel:DWORD src1_sel:BYTE_1
	v_and_b32_e32 v2, 2, v2
	v_lshl_or_b32 v25, v1, 2, v2
	ds_read_u16 v23, v25
	s_waitcnt lgkmcnt(0)
	v_add_u16_e32 v1, 1, v23
	ds_write_b16 v25, v1
	s_waitcnt lgkmcnt(0)
	s_barrier
	ds_read2_b64 v[5:8], v11 offset1:1
	ds_read2_b64 v[1:4], v11 offset0:2 offset1:3
	s_waitcnt lgkmcnt(1)
	v_add_u32_e32 v26, v6, v5
	v_add3_u32 v26, v26, v7, v8
	s_waitcnt lgkmcnt(0)
	v_add3_u32 v26, v26, v1, v2
	v_add3_u32 v4, v26, v3, v4
	s_nop 1
	v_mov_b32_dpp v26, v4 row_shr:1 row_mask:0xf bank_mask:0xf
	v_cndmask_b32_e64 v26, v26, 0, s[20:21]
	v_add_u32_e32 v4, v26, v4
	s_nop 1
	v_mov_b32_dpp v26, v4 row_shr:2 row_mask:0xf bank_mask:0xf
	v_cndmask_b32_e64 v26, 0, v26, s[18:19]
	v_add_u32_e32 v4, v4, v26
	;; [unrolled: 4-line block ×4, first 2 shown]
	s_nop 1
	v_mov_b32_dpp v26, v4 row_bcast:15 row_mask:0xf bank_mask:0xf
	v_cndmask_b32_e64 v26, v26, 0, s[12:13]
	v_add_u32_e32 v4, v4, v26
	s_nop 1
	v_mov_b32_dpp v26, v4 row_bcast:31 row_mask:0xf bank_mask:0xf
	v_cndmask_b32_e64 v26, 0, v26, s[8:9]
	v_add_u32_e32 v4, v4, v26
	s_and_saveexec_b64 s[24:25], s[10:11]
; %bb.62:
	ds_write_b32 v14, v4 offset:3200
; %bb.63:
	s_or_b64 exec, exec, s[24:25]
	s_waitcnt lgkmcnt(0)
	s_barrier
	s_and_saveexec_b64 s[24:25], s[4:5]
	s_cbranch_execz .LBB9_65
; %bb.64:
	ds_read_b32 v26, v15 offset:3200
	s_waitcnt lgkmcnt(0)
	s_nop 0
	v_mov_b32_dpp v27, v26 row_shr:1 row_mask:0xf bank_mask:0xf
	v_cndmask_b32_e64 v27, v27, 0, s[6:7]
	v_add_u32_e32 v26, v27, v26
	ds_write_b32 v15, v26 offset:3200
.LBB9_65:
	s_or_b64 exec, exec, s[24:25]
	v_mov_b32_e32 v26, 0
	v_mov_b32_e32 v27, 0
	s_waitcnt lgkmcnt(0)
	s_barrier
	s_and_saveexec_b64 s[24:25], s[2:3]
; %bb.66:
	ds_read_b32 v27, v14 offset:3196
; %bb.67:
	s_or_b64 exec, exec, s[24:25]
	s_waitcnt lgkmcnt(0)
	v_add_u32_e32 v4, v27, v4
	ds_bpermute_b32 v4, v13, v4
	ds_read_b32 v26, v26 offset:3204
	s_waitcnt lgkmcnt(1)
	v_cndmask_b32_e64 v4, v4, v27, s[0:1]
	s_waitcnt lgkmcnt(0)
	v_lshl_add_u32 v4, v26, 16, v4
	v_add_u32_e32 v5, v4, v5
	v_add_u32_e32 v6, v5, v6
	v_add_u32_e32 v7, v6, v7
	v_add_u32_e32 v26, v7, v8
	v_add_u32_e32 v27, v26, v1
	v_add_u32_e32 v1, v27, v2
	v_add_u32_e32 v2, v1, v3
	ds_write2_b64 v11, v[4:5], v[6:7] offset1:1
	ds_write2_b64 v11, v[26:27], v[1:2] offset0:2 offset1:3
	s_waitcnt lgkmcnt(0)
	s_barrier
	ds_read_u16 v1, v22
	ds_read_u16 v2, v24
	;; [unrolled: 1-line block ×3, first 2 shown]
	v_mov_b32_e32 v4, 1
	v_lshlrev_b32_sdwa v5, v4, v20 dst_sel:DWORD dst_unused:UNUSED_PAD src0_sel:DWORD src1_sel:WORD_0
	s_waitcnt lgkmcnt(2)
	v_lshl_add_u32 v1, v1, 1, v5
	s_waitcnt lgkmcnt(0)
	s_barrier
	ds_write_b16 v1, v19
	v_lshlrev_b32_sdwa v1, v4, v21 dst_sel:DWORD dst_unused:UNUSED_PAD src0_sel:DWORD src1_sel:WORD_0
	v_lshl_add_u32 v1, v2, 1, v1
	ds_write_b16 v1, v18
	v_lshlrev_b32_sdwa v1, v4, v23 dst_sel:DWORD dst_unused:UNUSED_PAD src0_sel:DWORD src1_sel:WORD_0
	v_lshl_add_u32 v1, v3, 1, v1
	ds_write_b16 v1, v17
	s_waitcnt lgkmcnt(0)
	s_barrier
	ds_read_u16 v18, v12
	ds_read_u16 v17, v12 offset:2
	ds_read_u16 v8, v12 offset:4
	s_waitcnt lgkmcnt(0)
	s_barrier
	s_and_saveexec_b64 s[24:25], s[22:23]
	s_cbranch_execz .LBB9_76
; %bb.68:
	s_movk_i32 s22, 0x2bc
	v_mov_b32_e32 v1, 0
	v_cmp_gt_u32_e32 vcc, s22, v0
	ds_write_b32 v16, v1
	s_and_b64 exec, exec, vcc
	s_cbranch_execz .LBB9_76
; %bb.69:
	s_movk_i32 s22, 0x258
	v_cmp_gt_u32_e32 vcc, s22, v0
	ds_write_b32 v16, v1 offset:400
	s_and_b64 exec, exec, vcc
	s_cbranch_execz .LBB9_76
; %bb.70:
	s_movk_i32 s22, 0x1f4
	v_mov_b32_e32 v1, 0
	v_cmp_gt_u32_e32 vcc, s22, v0
	ds_write_b32 v16, v1 offset:800
	s_and_b64 exec, exec, vcc
	s_cbranch_execz .LBB9_76
; %bb.71:
	s_movk_i32 s22, 0x190
	v_cmp_gt_u32_e32 vcc, s22, v0
	ds_write_b32 v16, v1 offset:1200
	s_and_b64 exec, exec, vcc
	s_cbranch_execz .LBB9_76
; %bb.72:
	s_movk_i32 s22, 0x12c
	v_mov_b32_e32 v1, 0
	v_cmp_gt_u32_e32 vcc, s22, v0
	ds_write_b32 v16, v1 offset:1600
	;; [unrolled: 13-line block ×3, first 2 shown]
	s_and_b64 exec, exec, vcc
; %bb.75:
	ds_write_b32 v16, v1 offset:2800
.LBB9_76:
	s_or_b64 exec, exec, s[24:25]
	v_lshrrev_b16_e32 v1, 12, v18
	v_and_b32_e32 v2, 7, v1
	s_movk_i32 s22, 0x64
	v_lshrrev_b32_e32 v1, 2, v1
	v_mad_u32_u24 v2, v2, s22, v0
	v_and_b32_e32 v1, 2, v1
	v_lshl_or_b32 v19, v2, 2, v1
	ds_read_u16 v16, v19
	v_lshrrev_b16_e32 v1, 12, v17
	s_waitcnt lgkmcnt(0)
	v_add_u16_e32 v2, 1, v16
	ds_write_b16 v19, v2
	v_and_b32_e32 v2, 7, v1
	v_lshrrev_b32_e32 v1, 2, v1
	v_mad_u32_u24 v2, v2, s22, v0
	v_and_b32_e32 v1, 2, v1
	v_lshl_or_b32 v22, v2, 2, v1
	ds_read_u16 v20, v22
	s_waitcnt lgkmcnt(0)
	v_add_u16_e32 v1, 1, v20
	ds_write_b16 v22, v1
	v_lshrrev_b16_e32 v1, 12, v8
	v_and_b32_e32 v2, 7, v1
	v_lshrrev_b32_e32 v1, 2, v1
	v_mad_u32_u24 v0, v2, s22, v0
	v_and_b32_e32 v1, 2, v1
	v_lshl_or_b32 v23, v0, 2, v1
	ds_read_u16 v21, v23
	s_waitcnt lgkmcnt(0)
	v_add_u16_e32 v0, 1, v21
	ds_write_b16 v23, v0
	s_waitcnt lgkmcnt(0)
	s_barrier
	ds_read2_b64 v[4:7], v11 offset1:1
	ds_read2_b64 v[0:3], v11 offset0:2 offset1:3
	s_waitcnt lgkmcnt(1)
	v_add_u32_e32 v24, v5, v4
	v_add3_u32 v24, v24, v6, v7
	s_waitcnt lgkmcnt(0)
	v_add3_u32 v24, v24, v0, v1
	v_add3_u32 v3, v24, v2, v3
	s_nop 1
	v_mov_b32_dpp v24, v3 row_shr:1 row_mask:0xf bank_mask:0xf
	v_cndmask_b32_e64 v24, v24, 0, s[20:21]
	v_add_u32_e32 v3, v24, v3
	s_nop 1
	v_mov_b32_dpp v24, v3 row_shr:2 row_mask:0xf bank_mask:0xf
	v_cndmask_b32_e64 v24, 0, v24, s[18:19]
	v_add_u32_e32 v3, v3, v24
	;; [unrolled: 4-line block ×4, first 2 shown]
	s_nop 1
	v_mov_b32_dpp v24, v3 row_bcast:15 row_mask:0xf bank_mask:0xf
	v_cndmask_b32_e64 v24, v24, 0, s[12:13]
	v_add_u32_e32 v3, v3, v24
	s_nop 1
	v_mov_b32_dpp v24, v3 row_bcast:31 row_mask:0xf bank_mask:0xf
	v_cndmask_b32_e64 v24, 0, v24, s[8:9]
	v_add_u32_e32 v3, v3, v24
	s_and_saveexec_b64 s[8:9], s[10:11]
; %bb.77:
	ds_write_b32 v14, v3 offset:3200
; %bb.78:
	s_or_b64 exec, exec, s[8:9]
	s_waitcnt lgkmcnt(0)
	s_barrier
	s_and_saveexec_b64 s[8:9], s[4:5]
	s_cbranch_execz .LBB9_80
; %bb.79:
	ds_read_b32 v24, v15 offset:3200
	s_waitcnt lgkmcnt(0)
	s_nop 0
	v_mov_b32_dpp v25, v24 row_shr:1 row_mask:0xf bank_mask:0xf
	v_cndmask_b32_e64 v25, v25, 0, s[6:7]
	v_add_u32_e32 v24, v25, v24
	ds_write_b32 v15, v24 offset:3200
.LBB9_80:
	s_or_b64 exec, exec, s[8:9]
	v_mov_b32_e32 v15, 0
	v_mov_b32_e32 v24, 0
	s_waitcnt lgkmcnt(0)
	s_barrier
	s_and_saveexec_b64 s[4:5], s[2:3]
; %bb.81:
	ds_read_b32 v24, v14 offset:3196
; %bb.82:
	s_or_b64 exec, exec, s[4:5]
	s_waitcnt lgkmcnt(0)
	v_add_u32_e32 v3, v24, v3
	ds_bpermute_b32 v3, v13, v3
	ds_read_b32 v13, v15 offset:3204
	s_waitcnt lgkmcnt(1)
	v_cndmask_b32_e64 v3, v3, v24, s[0:1]
	s_waitcnt lgkmcnt(0)
	v_lshl_add_u32 v3, v13, 16, v3
	v_add_u32_e32 v4, v3, v4
	v_add_u32_e32 v5, v4, v5
	;; [unrolled: 1-line block ×7, first 2 shown]
	ds_write2_b64 v11, v[3:4], v[5:6] offset1:1
	ds_write2_b64 v11, v[13:14], v[0:1] offset0:2 offset1:3
	s_waitcnt lgkmcnt(0)
	s_barrier
	ds_read_u16 v0, v23
	ds_read_u16 v1, v22
	;; [unrolled: 1-line block ×3, first 2 shown]
	v_mov_b32_e32 v3, 1
	v_lshlrev_b32_sdwa v4, v3, v16 dst_sel:DWORD dst_unused:UNUSED_PAD src0_sel:DWORD src1_sel:WORD_0
	s_waitcnt lgkmcnt(0)
	s_barrier
	v_lshl_add_u32 v2, v2, 1, v4
	ds_write_b16 v2, v18
	v_lshlrev_b32_sdwa v2, v3, v20 dst_sel:DWORD dst_unused:UNUSED_PAD src0_sel:DWORD src1_sel:WORD_0
	v_lshl_add_u32 v1, v1, 1, v2
	ds_write_b16 v1, v17
	v_lshlrev_b32_sdwa v1, v3, v21 dst_sel:DWORD dst_unused:UNUSED_PAD src0_sel:DWORD src1_sel:WORD_0
	v_lshl_add_u32 v0, v0, 1, v1
	ds_write_b16 v0, v8
	s_waitcnt lgkmcnt(0)
	s_barrier
.LBB9_83:
	ds_read_u16 v0, v12 offset:4
	ds_read_b32 v1, v12
	s_waitcnt lgkmcnt(1)
	global_store_short v[9:10], v0, off offset:4
	s_waitcnt lgkmcnt(0)
	global_store_dword v[9:10], v1, off
	s_endpgm
	.section	.rodata,"a",@progbits
	.p2align	6, 0x0
	.amdhsa_kernel _Z15sort_key_kernelILj100ELj3ELb0ELb0EtEvPT3_jj
		.amdhsa_group_segment_fixed_size 3216
		.amdhsa_private_segment_fixed_size 0
		.amdhsa_kernarg_size 16
		.amdhsa_user_sgpr_count 6
		.amdhsa_user_sgpr_private_segment_buffer 1
		.amdhsa_user_sgpr_dispatch_ptr 0
		.amdhsa_user_sgpr_queue_ptr 0
		.amdhsa_user_sgpr_kernarg_segment_ptr 1
		.amdhsa_user_sgpr_dispatch_id 0
		.amdhsa_user_sgpr_flat_scratch_init 0
		.amdhsa_user_sgpr_private_segment_size 0
		.amdhsa_uses_dynamic_stack 0
		.amdhsa_system_sgpr_private_segment_wavefront_offset 0
		.amdhsa_system_sgpr_workgroup_id_x 1
		.amdhsa_system_sgpr_workgroup_id_y 0
		.amdhsa_system_sgpr_workgroup_id_z 0
		.amdhsa_system_sgpr_workgroup_info 0
		.amdhsa_system_vgpr_workitem_id 0
		.amdhsa_next_free_vgpr 34
		.amdhsa_next_free_sgpr 61
		.amdhsa_reserve_vcc 1
		.amdhsa_reserve_flat_scratch 0
		.amdhsa_float_round_mode_32 0
		.amdhsa_float_round_mode_16_64 0
		.amdhsa_float_denorm_mode_32 3
		.amdhsa_float_denorm_mode_16_64 3
		.amdhsa_dx10_clamp 1
		.amdhsa_ieee_mode 1
		.amdhsa_fp16_overflow 0
		.amdhsa_exception_fp_ieee_invalid_op 0
		.amdhsa_exception_fp_denorm_src 0
		.amdhsa_exception_fp_ieee_div_zero 0
		.amdhsa_exception_fp_ieee_overflow 0
		.amdhsa_exception_fp_ieee_underflow 0
		.amdhsa_exception_fp_ieee_inexact 0
		.amdhsa_exception_int_div_zero 0
	.end_amdhsa_kernel
	.section	.text._Z15sort_key_kernelILj100ELj3ELb0ELb0EtEvPT3_jj,"axG",@progbits,_Z15sort_key_kernelILj100ELj3ELb0ELb0EtEvPT3_jj,comdat
.Lfunc_end9:
	.size	_Z15sort_key_kernelILj100ELj3ELb0ELb0EtEvPT3_jj, .Lfunc_end9-_Z15sort_key_kernelILj100ELj3ELb0ELb0EtEvPT3_jj
                                        ; -- End function
	.set _Z15sort_key_kernelILj100ELj3ELb0ELb0EtEvPT3_jj.num_vgpr, 34
	.set _Z15sort_key_kernelILj100ELj3ELb0ELb0EtEvPT3_jj.num_agpr, 0
	.set _Z15sort_key_kernelILj100ELj3ELb0ELb0EtEvPT3_jj.numbered_sgpr, 45
	.set _Z15sort_key_kernelILj100ELj3ELb0ELb0EtEvPT3_jj.num_named_barrier, 0
	.set _Z15sort_key_kernelILj100ELj3ELb0ELb0EtEvPT3_jj.private_seg_size, 0
	.set _Z15sort_key_kernelILj100ELj3ELb0ELb0EtEvPT3_jj.uses_vcc, 1
	.set _Z15sort_key_kernelILj100ELj3ELb0ELb0EtEvPT3_jj.uses_flat_scratch, 0
	.set _Z15sort_key_kernelILj100ELj3ELb0ELb0EtEvPT3_jj.has_dyn_sized_stack, 0
	.set _Z15sort_key_kernelILj100ELj3ELb0ELb0EtEvPT3_jj.has_recursion, 0
	.set _Z15sort_key_kernelILj100ELj3ELb0ELb0EtEvPT3_jj.has_indirect_call, 0
	.section	.AMDGPU.csdata,"",@progbits
; Kernel info:
; codeLenInByte = 5212
; TotalNumSgprs: 49
; NumVgprs: 34
; ScratchSize: 0
; MemoryBound: 0
; FloatMode: 240
; IeeeMode: 1
; LDSByteSize: 3216 bytes/workgroup (compile time only)
; SGPRBlocks: 8
; VGPRBlocks: 8
; NumSGPRsForWavesPerEU: 65
; NumVGPRsForWavesPerEU: 34
; Occupancy: 7
; WaveLimiterHint : 0
; COMPUTE_PGM_RSRC2:SCRATCH_EN: 0
; COMPUTE_PGM_RSRC2:USER_SGPR: 6
; COMPUTE_PGM_RSRC2:TRAP_HANDLER: 0
; COMPUTE_PGM_RSRC2:TGID_X_EN: 1
; COMPUTE_PGM_RSRC2:TGID_Y_EN: 0
; COMPUTE_PGM_RSRC2:TGID_Z_EN: 0
; COMPUTE_PGM_RSRC2:TIDIG_COMP_CNT: 0
	.section	.text._Z15sort_key_kernelILj464ELj2ELb1ELb1EcEvPT3_jj,"axG",@progbits,_Z15sort_key_kernelILj464ELj2ELb1ELb1EcEvPT3_jj,comdat
	.protected	_Z15sort_key_kernelILj464ELj2ELb1ELb1EcEvPT3_jj ; -- Begin function _Z15sort_key_kernelILj464ELj2ELb1ELb1EcEvPT3_jj
	.globl	_Z15sort_key_kernelILj464ELj2ELb1ELb1EcEvPT3_jj
	.p2align	8
	.type	_Z15sort_key_kernelILj464ELj2ELb1ELb1EcEvPT3_jj,@function
_Z15sort_key_kernelILj464ELj2ELb1ELb1EcEvPT3_jj: ; @_Z15sort_key_kernelILj464ELj2ELb1ELb1EcEvPT3_jj
; %bb.0:
	s_load_dwordx4 s[28:31], s[4:5], 0x0
	s_mulk_i32 s6, 0x3a0
	v_lshlrev_b32_e32 v12, 1, v0
	s_movk_i32 s26, 0x3a0
	s_mov_b64 s[4:5], -1
	s_waitcnt lgkmcnt(0)
	s_add_u32 s34, s28, s6
	s_addc_u32 s35, s29, 0
	global_load_ushort v1, v12, s[34:35]
	s_cmp_lg_u32 s30, 0
	s_cselect_b64 s[6:7], -1, 0
	s_cmp_lg_u32 s31, 8
	s_cselect_b64 s[8:9], -1, 0
	s_or_b64 s[6:7], s[6:7], s[8:9]
	v_mbcnt_lo_u32_b32 v14, -1, 0
	v_lshlrev_b32_e32 v9, 5, v0
	v_cmp_gt_u32_e64 s[0:1], 8, v0
	v_cmp_lt_u32_e64 s[2:3], 63, v0
	v_lshrrev_b32_e32 v13, 4, v0
	v_lshlrev_b32_e32 v10, 2, v0
	s_and_b64 vcc, exec, s[6:7]
	s_waitcnt vmcnt(0)
	v_and_b32_e32 v2, 0xffffff00, v1
	v_xor_b32_e32 v1, 0x7f, v1
	v_xor_b32_e32 v2, 0x7f00, v2
	v_or_b32_sdwa v1, v1, v2 dst_sel:DWORD dst_unused:UNUSED_PAD src0_sel:BYTE_0 src1_sel:DWORD
	v_and_b32_e32 v11, 0xffff, v1
	s_cbranch_vccz .LBB10_15
; %bb.1:
	v_mbcnt_hi_u32_b32 v1, -1, v14
	v_and_b32_e32 v2, 15, v1
	v_cmp_eq_u32_e64 s[4:5], 0, v2
	v_cmp_lt_u32_e64 s[6:7], 1, v2
	v_cmp_lt_u32_e64 s[8:9], 3, v2
	;; [unrolled: 1-line block ×3, first 2 shown]
	v_and_b32_e32 v2, 16, v1
	v_cmp_eq_u32_e64 s[12:13], 0, v2
	v_and_b32_e32 v2, 0x1c0, v0
	v_min_u32_e32 v2, 0x190, v2
	v_add_u32_e32 v2, 63, v2
	v_cmp_eq_u32_e64 s[16:17], v0, v2
	v_subrev_co_u32_e64 v2, s[18:19], 1, v1
	v_and_b32_e32 v3, 64, v1
	v_cmp_lt_i32_e32 vcc, v2, v3
	v_cmp_lt_u32_e64 s[14:15], 31, v1
	v_cndmask_b32_e32 v2, v2, v1, vcc
	v_and_b32_e32 v1, 7, v1
	v_sub_u32_e32 v17, v10, v12
	s_movk_i32 s33, 0x1d0
	v_lshlrev_b32_e32 v15, 2, v2
	v_and_b32_e32 v16, 28, v13
	v_cmp_eq_u32_e64 s[20:21], 0, v1
	v_cmp_lt_u32_e64 s[22:23], 1, v1
	v_cmp_lt_u32_e64 s[24:25], 3, v1
	v_cmp_gt_u32_e64 s[26:27], s26, v0
	v_cmp_gt_u32_e64 s[28:29], s33, v0
	s_sub_i32 s38, s31, s30
	v_add_u32_e32 v18, v17, v12
	v_mov_b32_e32 v19, 0
	v_mov_b32_e32 v20, v11
	s_branch .LBB10_3
.LBB10_2:                               ;   in Loop: Header=BB10_3 Depth=1
	s_andn2_b64 vcc, exec, s[36:37]
	s_mov_b32 s38, s39
	s_cbranch_vccz .LBB10_14
.LBB10_3:                               ; =>This Inner Loop Header: Depth=1
	ds_write_b32 v18, v19
	ds_write_b32 v18, v19 offset:1856
	ds_write_b32 v18, v19 offset:3712
	;; [unrolled: 1-line block ×5, first 2 shown]
	s_and_saveexec_b64 s[36:37], s[26:27]
	s_cbranch_execz .LBB10_6
; %bb.4:                                ;   in Loop: Header=BB10_3 Depth=1
	ds_write_b32 v18, v19 offset:11136
	s_and_b64 exec, exec, s[28:29]
; %bb.5:                                ;   in Loop: Header=BB10_3 Depth=1
	ds_write_b32 v18, v19 offset:12992
.LBB10_6:                               ;   in Loop: Header=BB10_3 Depth=1
	s_or_b64 exec, exec, s[36:37]
	s_min_u32 s36, s38, 4
	s_lshl_b32 s36, -1, s36
	s_not_b32 s36, s36
	v_lshrrev_b32_sdwa v1, s30, v20 dst_sel:DWORD dst_unused:UNUSED_PAD src0_sel:DWORD src1_sel:BYTE_0
	v_and_b32_e32 v1, s36, v1
	v_and_b32_e32 v2, 7, v1
	v_lshrrev_b32_e32 v1, 2, v1
	v_mad_u32_u24 v2, v2, s33, v0
	v_and_b32_e32 v1, 30, v1
	v_lshl_add_u32 v24, v2, 2, v1
	ds_read_u16 v21, v24
	v_lshrrev_b16_e32 v22, 8, v20
	s_waitcnt lgkmcnt(0)
	v_add_u16_e32 v1, 1, v21
	ds_write_b16 v24, v1
	v_lshrrev_b32_e32 v1, s30, v22
	v_and_b32_e32 v1, s36, v1
	v_and_b32_e32 v2, 7, v1
	v_lshrrev_b32_e32 v1, 2, v1
	v_mad_u32_u24 v2, v2, s33, v0
	v_and_b32_e32 v1, 30, v1
	v_lshl_add_u32 v25, v2, 2, v1
	ds_read_u16 v23, v25
	s_waitcnt lgkmcnt(0)
	v_add_u16_e32 v1, 1, v23
	ds_write_b16 v25, v1
	s_waitcnt lgkmcnt(0)
	s_barrier
	ds_read2_b64 v[5:8], v9 offset1:1
	ds_read2_b64 v[1:4], v9 offset0:2 offset1:3
	s_waitcnt lgkmcnt(1)
	v_add_u32_e32 v26, v6, v5
	v_add3_u32 v26, v26, v7, v8
	s_waitcnt lgkmcnt(0)
	v_add3_u32 v26, v26, v1, v2
	v_add3_u32 v4, v26, v3, v4
	s_nop 1
	v_mov_b32_dpp v26, v4 row_shr:1 row_mask:0xf bank_mask:0xf
	v_cndmask_b32_e64 v26, v26, 0, s[4:5]
	v_add_u32_e32 v4, v26, v4
	s_nop 1
	v_mov_b32_dpp v26, v4 row_shr:2 row_mask:0xf bank_mask:0xf
	v_cndmask_b32_e64 v26, 0, v26, s[6:7]
	v_add_u32_e32 v4, v4, v26
	s_nop 1
	v_mov_b32_dpp v26, v4 row_shr:4 row_mask:0xf bank_mask:0xf
	v_cndmask_b32_e64 v26, 0, v26, s[8:9]
	v_add_u32_e32 v4, v4, v26
	s_nop 1
	v_mov_b32_dpp v26, v4 row_shr:8 row_mask:0xf bank_mask:0xf
	v_cndmask_b32_e64 v26, 0, v26, s[10:11]
	v_add_u32_e32 v4, v4, v26
	s_nop 1
	v_mov_b32_dpp v26, v4 row_bcast:15 row_mask:0xf bank_mask:0xf
	v_cndmask_b32_e64 v26, v26, 0, s[12:13]
	v_add_u32_e32 v4, v4, v26
	s_nop 1
	v_mov_b32_dpp v26, v4 row_bcast:31 row_mask:0xf bank_mask:0xf
	v_cndmask_b32_e64 v26, 0, v26, s[14:15]
	v_add_u32_e32 v4, v4, v26
	s_and_saveexec_b64 s[36:37], s[16:17]
; %bb.7:                                ;   in Loop: Header=BB10_3 Depth=1
	ds_write_b32 v16, v4 offset:14848
; %bb.8:                                ;   in Loop: Header=BB10_3 Depth=1
	s_or_b64 exec, exec, s[36:37]
	s_waitcnt lgkmcnt(0)
	s_barrier
	s_and_saveexec_b64 s[36:37], s[0:1]
	s_cbranch_execz .LBB10_10
; %bb.9:                                ;   in Loop: Header=BB10_3 Depth=1
	ds_read_b32 v26, v10 offset:14848
	s_waitcnt lgkmcnt(0)
	s_nop 0
	v_mov_b32_dpp v27, v26 row_shr:1 row_mask:0xf bank_mask:0xf
	v_cndmask_b32_e64 v27, v27, 0, s[20:21]
	v_add_u32_e32 v26, v27, v26
	s_nop 1
	v_mov_b32_dpp v27, v26 row_shr:2 row_mask:0xf bank_mask:0xf
	v_cndmask_b32_e64 v27, 0, v27, s[22:23]
	v_add_u32_e32 v26, v26, v27
	;; [unrolled: 4-line block ×3, first 2 shown]
	ds_write_b32 v10, v26 offset:14848
.LBB10_10:                              ;   in Loop: Header=BB10_3 Depth=1
	s_or_b64 exec, exec, s[36:37]
	v_mov_b32_e32 v26, 0
	s_waitcnt lgkmcnt(0)
	s_barrier
	s_and_saveexec_b64 s[36:37], s[2:3]
; %bb.11:                               ;   in Loop: Header=BB10_3 Depth=1
	ds_read_b32 v26, v16 offset:14844
; %bb.12:                               ;   in Loop: Header=BB10_3 Depth=1
	s_or_b64 exec, exec, s[36:37]
	s_waitcnt lgkmcnt(0)
	v_add_u32_e32 v4, v26, v4
	ds_bpermute_b32 v27, v15, v4
	ds_read_b32 v28, v19 offset:14876
	s_add_i32 s30, s30, 4
	v_mov_b32_e32 v4, v20
	s_cmp_ge_u32 s30, s31
	s_waitcnt lgkmcnt(1)
	v_cndmask_b32_e64 v26, v27, v26, s[18:19]
	s_waitcnt lgkmcnt(0)
	v_lshl_add_u32 v26, v28, 16, v26
	v_add_u32_e32 v27, v26, v5
	v_add_u32_e32 v5, v27, v6
	;; [unrolled: 1-line block ×7, first 2 shown]
	ds_write2_b64 v9, v[26:27], v[5:6] offset1:1
	ds_write2_b64 v9, v[7:8], v[1:2] offset0:2 offset1:3
	s_waitcnt lgkmcnt(0)
	s_barrier
	ds_read_u16 v2, v24
	ds_read_u16 v1, v25
	s_mov_b64 s[36:37], -1
	v_readfirstlane_b32 s39, v0
	s_waitcnt lgkmcnt(0)
	s_cbranch_scc1 .LBB10_2
; %bb.13:                               ;   in Loop: Header=BB10_3 Depth=1
	v_add_u32_sdwa v3, v2, v21 dst_sel:DWORD dst_unused:UNUSED_PAD src0_sel:DWORD src1_sel:WORD_0
	s_barrier
	ds_write_b8 v3, v20
	v_add_u32_sdwa v3, v1, v23 dst_sel:DWORD dst_unused:UNUSED_PAD src0_sel:DWORD src1_sel:WORD_0
	ds_write_b8 v3, v22
	s_waitcnt lgkmcnt(0)
	s_barrier
	ds_read_u16 v20, v17
	s_add_i32 s39, s38, -4
	s_mov_b64 s[36:37], 0
	s_waitcnt lgkmcnt(0)
	s_barrier
	s_branch .LBB10_2
.LBB10_14:
	v_add_u32_sdwa v2, v2, v21 dst_sel:DWORD dst_unused:UNUSED_PAD src0_sel:DWORD src1_sel:WORD_0
	v_add_u32_sdwa v1, v1, v23 dst_sel:DWORD dst_unused:UNUSED_PAD src0_sel:DWORD src1_sel:WORD_0
	s_mov_b64 s[4:5], 0
	s_barrier
	ds_write_b8 v2, v4
	ds_write_b8 v1, v22
	s_waitcnt lgkmcnt(0)
	s_barrier
.LBB10_15:
	s_and_b64 vcc, exec, s[4:5]
	s_cbranch_vccz .LBB10_35
; %bb.16:
	s_movk_i32 s0, 0xffe4
	v_mad_i32_i24 v21, v0, s0, v9
	s_movk_i32 s0, 0x3a0
	v_mov_b32_e32 v1, 0
	v_cmp_gt_u32_e64 s[0:1], s0, v0
	ds_write_b32 v21, v1
	ds_write_b32 v21, v1 offset:1856
	ds_write_b32 v21, v1 offset:3712
	;; [unrolled: 1-line block ×5, first 2 shown]
	s_and_saveexec_b64 s[2:3], s[0:1]
	s_cbranch_execz .LBB10_19
; %bb.17:
	s_movk_i32 s4, 0x1d0
	v_cmp_gt_u32_e32 vcc, s4, v0
	ds_write_b32 v21, v1 offset:11136
	s_and_b64 exec, exec, vcc
; %bb.18:
	v_mov_b32_e32 v1, 0
	ds_write_b32 v21, v1 offset:12992
.LBB10_19:
	s_or_b64 exec, exec, s[2:3]
	v_and_b32_e32 v1, 7, v11
	s_movk_i32 s2, 0x1d0
	v_lshrrev_b32_e32 v2, 2, v11
	v_mad_u32_u24 v1, v1, s2, v0
	v_and_b32_e32 v2, 2, v2
	v_lshl_or_b32 v17, v1, 2, v2
	ds_read_u16 v15, v17
	v_lshrrev_b16_e32 v16, 8, v11
	v_mov_b32_e32 v2, 7
	v_mov_b32_e32 v3, 2
	v_mbcnt_hi_u32_b32 v20, -1, v14
	s_waitcnt lgkmcnt(0)
	v_add_u16_e32 v1, 1, v15
	ds_write_b16 v17, v1
	v_and_b32_e32 v1, 15, v16
	v_and_b32_sdwa v2, v1, v2 dst_sel:DWORD dst_unused:UNUSED_PAD src0_sel:WORD_0 src1_sel:DWORD
	v_lshrrev_b32_sdwa v1, v3, v1 dst_sel:DWORD dst_unused:UNUSED_PAD src0_sel:DWORD src1_sel:WORD_0
	v_mad_u32_u24 v2, v2, s2, v0
	v_and_b32_e32 v1, 2, v1
	v_lshl_or_b32 v19, v2, 2, v1
	ds_read_u16 v18, v19
	v_and_b32_e32 v1, 16, v20
	v_cmp_eq_u32_e32 vcc, 0, v1
	v_and_b32_e32 v1, 0x1c0, v0
	v_min_u32_e32 v1, 0x190, v1
	s_waitcnt lgkmcnt(0)
	v_add_u16_e32 v2, 1, v18
	ds_write_b16 v19, v2
	s_waitcnt lgkmcnt(0)
	s_barrier
	ds_read2_b64 v[5:8], v9 offset1:1
	v_add_u32_e32 v23, 63, v1
	ds_read2_b64 v[1:4], v9 offset0:2 offset1:3
	v_cmp_eq_u32_e64 s[2:3], v0, v23
	v_and_b32_e32 v14, 15, v20
	s_waitcnt lgkmcnt(1)
	v_add_u32_e32 v23, v6, v5
	v_add3_u32 v23, v23, v7, v8
	s_waitcnt lgkmcnt(0)
	v_add3_u32 v23, v23, v1, v2
	v_add3_u32 v4, v23, v3, v4
	v_cmp_eq_u32_e64 s[10:11], 0, v14
	v_cmp_lt_u32_e64 s[12:13], 1, v14
	v_mov_b32_dpp v23, v4 row_shr:1 row_mask:0xf bank_mask:0xf
	v_cndmask_b32_e64 v23, v23, 0, s[10:11]
	v_add_u32_e32 v4, v23, v4
	v_cmp_lt_u32_e64 s[14:15], 3, v14
	v_cmp_lt_u32_e64 s[18:19], 7, v14
	v_mov_b32_dpp v23, v4 row_shr:2 row_mask:0xf bank_mask:0xf
	v_cndmask_b32_e64 v23, 0, v23, s[12:13]
	v_add_u32_e32 v4, v4, v23
	v_bfe_i32 v22, v20, 4, 1
	v_cmp_lt_u32_e64 s[20:21], 31, v20
	v_mov_b32_dpp v23, v4 row_shr:4 row_mask:0xf bank_mask:0xf
	v_cndmask_b32_e64 v23, 0, v23, s[14:15]
	v_add_u32_e32 v4, v4, v23
	v_and_b32_e32 v13, 28, v13
	s_nop 0
	v_mov_b32_dpp v23, v4 row_shr:8 row_mask:0xf bank_mask:0xf
	v_cndmask_b32_e64 v14, 0, v23, s[18:19]
	v_add_u32_e32 v4, v4, v14
	s_nop 1
	v_mov_b32_dpp v14, v4 row_bcast:15 row_mask:0xf bank_mask:0xf
	v_and_b32_e32 v14, v22, v14
	v_add_u32_e32 v4, v4, v14
	s_nop 1
	v_mov_b32_dpp v14, v4 row_bcast:31 row_mask:0xf bank_mask:0xf
	v_cndmask_b32_e64 v14, 0, v14, s[20:21]
	v_add_u32_e32 v22, v4, v14
	s_and_saveexec_b64 s[4:5], s[2:3]
; %bb.20:
	ds_write_b32 v13, v22 offset:14848
; %bb.21:
	s_or_b64 exec, exec, s[4:5]
	v_and_b32_e32 v14, 7, v20
	v_sub_u32_e32 v4, v21, v12
	v_cmp_gt_u32_e64 s[16:17], 8, v0
	v_cmp_eq_u32_e64 s[8:9], 0, v14
	v_cmp_lt_u32_e64 s[6:7], 1, v14
	v_cmp_lt_u32_e64 s[4:5], 3, v14
	v_add_u32_e32 v12, v4, v12
	s_waitcnt lgkmcnt(0)
	s_barrier
	s_and_saveexec_b64 s[22:23], s[16:17]
	s_cbranch_execz .LBB10_23
; %bb.22:
	ds_read_b32 v14, v12 offset:14848
	s_waitcnt lgkmcnt(0)
	s_nop 0
	v_mov_b32_dpp v21, v14 row_shr:1 row_mask:0xf bank_mask:0xf
	v_cndmask_b32_e64 v21, v21, 0, s[8:9]
	v_add_u32_e32 v14, v21, v14
	s_nop 1
	v_mov_b32_dpp v21, v14 row_shr:2 row_mask:0xf bank_mask:0xf
	v_cndmask_b32_e64 v21, 0, v21, s[6:7]
	v_add_u32_e32 v14, v14, v21
	;; [unrolled: 4-line block ×3, first 2 shown]
	ds_write_b32 v12, v14 offset:14848
.LBB10_23:
	s_or_b64 exec, exec, s[22:23]
	v_cmp_lt_u32_e64 s[22:23], 63, v0
	v_mov_b32_e32 v21, 0
	v_mov_b32_e32 v23, 0
	s_waitcnt lgkmcnt(0)
	s_barrier
	s_and_saveexec_b64 s[24:25], s[22:23]
; %bb.24:
	ds_read_b32 v23, v13 offset:14844
; %bb.25:
	s_or_b64 exec, exec, s[24:25]
	v_add_u32_e32 v14, -1, v20
	v_and_b32_e32 v24, 64, v20
	v_cmp_lt_i32_e64 s[24:25], v14, v24
	v_cndmask_b32_e64 v14, v14, v20, s[24:25]
	v_lshlrev_b32_e32 v14, 2, v14
	s_waitcnt lgkmcnt(0)
	v_add_u32_e32 v22, v23, v22
	ds_bpermute_b32 v22, v14, v22
	ds_read_b32 v24, v21 offset:14876
	v_cmp_eq_u32_e64 s[24:25], 0, v20
	s_waitcnt lgkmcnt(1)
	v_cndmask_b32_e64 v20, v22, v23, s[24:25]
	s_waitcnt lgkmcnt(0)
	v_lshl_add_u32 v22, v24, 16, v20
	v_add_u32_e32 v23, v22, v5
	v_add_u32_e32 v5, v23, v6
	;; [unrolled: 1-line block ×7, first 2 shown]
	ds_write2_b64 v9, v[22:23], v[5:6] offset1:1
	ds_write2_b64 v9, v[7:8], v[1:2] offset0:2 offset1:3
	s_waitcnt lgkmcnt(0)
	s_barrier
	ds_read_u16 v1, v17
	ds_read_u16 v2, v19
	s_waitcnt lgkmcnt(0)
	s_barrier
	v_add_u32_sdwa v1, v1, v15 dst_sel:DWORD dst_unused:UNUSED_PAD src0_sel:DWORD src1_sel:WORD_0
	ds_write_b8 v1, v11
	v_add_u32_sdwa v1, v2, v18 dst_sel:DWORD dst_unused:UNUSED_PAD src0_sel:DWORD src1_sel:WORD_0
	ds_write_b8 v1, v16
	s_waitcnt lgkmcnt(0)
	s_barrier
	ds_read_u16 v11, v4
	s_waitcnt lgkmcnt(0)
	s_barrier
	ds_write_b32 v10, v21
	ds_write_b32 v10, v21 offset:1856
	ds_write_b32 v10, v21 offset:3712
	;; [unrolled: 1-line block ×5, first 2 shown]
	s_and_saveexec_b64 s[26:27], s[0:1]
	s_cbranch_execz .LBB10_28
; %bb.26:
	s_movk_i32 s0, 0x1d0
	v_mov_b32_e32 v1, 0
	v_cmp_gt_u32_e64 s[0:1], s0, v0
	ds_write_b32 v10, v1 offset:11136
	s_and_b64 exec, exec, s[0:1]
; %bb.27:
	ds_write_b32 v10, v1 offset:12992
.LBB10_28:
	s_or_b64 exec, exec, s[26:27]
	v_lshrrev_b16_e32 v1, 4, v11
	v_and_b32_e32 v1, 15, v1
	v_mov_b32_e32 v2, 7
	v_mov_b32_e32 v3, 2
	v_and_b32_sdwa v2, v1, v2 dst_sel:DWORD dst_unused:UNUSED_PAD src0_sel:WORD_0 src1_sel:DWORD
	s_movk_i32 s0, 0x1d0
	v_lshrrev_b32_sdwa v1, v3, v1 dst_sel:DWORD dst_unused:UNUSED_PAD src0_sel:DWORD src1_sel:WORD_0
	v_mad_u32_u24 v2, v2, s0, v0
	v_and_b32_e32 v1, 2, v1
	v_lshl_or_b32 v15, v2, 2, v1
	ds_read_u16 v10, v15
	s_waitcnt lgkmcnt(0)
	v_add_u16_e32 v1, 1, v10
	ds_write_b16 v15, v1
	v_lshrrev_b16_e32 v1, 12, v11
	v_and_b32_e32 v2, 7, v1
	v_lshrrev_b32_e32 v1, 2, v1
	v_mad_u32_u24 v2, v2, s0, v0
	v_and_b32_e32 v1, 2, v1
	v_lshl_or_b32 v17, v2, 2, v1
	ds_read_u16 v16, v17
	s_waitcnt lgkmcnt(0)
	v_add_u16_e32 v1, 1, v16
	ds_write_b16 v17, v1
	s_waitcnt lgkmcnt(0)
	s_barrier
	ds_read2_b64 v[5:8], v9 offset1:1
	ds_read2_b64 v[1:4], v9 offset0:2 offset1:3
	s_waitcnt lgkmcnt(1)
	v_add_u32_e32 v18, v6, v5
	v_add3_u32 v18, v18, v7, v8
	s_waitcnt lgkmcnt(0)
	v_add3_u32 v18, v18, v1, v2
	v_add3_u32 v4, v18, v3, v4
	s_nop 1
	v_mov_b32_dpp v18, v4 row_shr:1 row_mask:0xf bank_mask:0xf
	v_cndmask_b32_e64 v18, v18, 0, s[10:11]
	v_add_u32_e32 v4, v18, v4
	s_nop 1
	v_mov_b32_dpp v18, v4 row_shr:2 row_mask:0xf bank_mask:0xf
	v_cndmask_b32_e64 v18, 0, v18, s[12:13]
	v_add_u32_e32 v4, v4, v18
	;; [unrolled: 4-line block ×4, first 2 shown]
	s_nop 1
	v_mov_b32_dpp v18, v4 row_bcast:15 row_mask:0xf bank_mask:0xf
	v_cndmask_b32_e64 v18, v18, 0, vcc
	v_add_u32_e32 v4, v4, v18
	s_nop 1
	v_mov_b32_dpp v18, v4 row_bcast:31 row_mask:0xf bank_mask:0xf
	v_cndmask_b32_e64 v18, 0, v18, s[20:21]
	v_add_u32_e32 v18, v4, v18
	s_and_saveexec_b64 s[0:1], s[2:3]
; %bb.29:
	ds_write_b32 v13, v18 offset:14848
; %bb.30:
	s_or_b64 exec, exec, s[0:1]
	s_waitcnt lgkmcnt(0)
	s_barrier
	s_and_saveexec_b64 s[0:1], s[16:17]
	s_cbranch_execz .LBB10_32
; %bb.31:
	ds_read_b32 v4, v12 offset:14848
	s_waitcnt lgkmcnt(0)
	s_nop 0
	v_mov_b32_dpp v19, v4 row_shr:1 row_mask:0xf bank_mask:0xf
	v_cndmask_b32_e64 v19, v19, 0, s[8:9]
	v_add_u32_e32 v4, v19, v4
	s_nop 1
	v_mov_b32_dpp v19, v4 row_shr:2 row_mask:0xf bank_mask:0xf
	v_cndmask_b32_e64 v19, 0, v19, s[6:7]
	v_add_u32_e32 v4, v4, v19
	;; [unrolled: 4-line block ×3, first 2 shown]
	ds_write_b32 v12, v4 offset:14848
.LBB10_32:
	s_or_b64 exec, exec, s[0:1]
	v_lshrrev_b16_e32 v4, 8, v11
	v_mov_b32_e32 v12, 0
	v_mov_b32_e32 v19, 0
	s_waitcnt lgkmcnt(0)
	s_barrier
	s_and_saveexec_b64 s[0:1], s[22:23]
; %bb.33:
	ds_read_b32 v19, v13 offset:14844
; %bb.34:
	s_or_b64 exec, exec, s[0:1]
	s_waitcnt lgkmcnt(0)
	v_add_u32_e32 v13, v19, v18
	ds_bpermute_b32 v13, v14, v13
	ds_read_b32 v12, v12 offset:14876
	s_waitcnt lgkmcnt(1)
	v_cndmask_b32_e64 v13, v13, v19, s[24:25]
	s_waitcnt lgkmcnt(0)
	v_lshl_add_u32 v12, v12, 16, v13
	v_add_u32_e32 v13, v12, v5
	v_add_u32_e32 v5, v13, v6
	;; [unrolled: 1-line block ×7, first 2 shown]
	ds_write2_b64 v9, v[12:13], v[5:6] offset1:1
	ds_write2_b64 v9, v[7:8], v[1:2] offset0:2 offset1:3
	s_waitcnt lgkmcnt(0)
	s_barrier
	ds_read_u16 v1, v15
	ds_read_u16 v2, v17
	s_waitcnt lgkmcnt(0)
	s_barrier
	v_add_u32_sdwa v1, v1, v10 dst_sel:DWORD dst_unused:UNUSED_PAD src0_sel:DWORD src1_sel:WORD_0
	ds_write_b8 v1, v11
	v_add_u32_sdwa v1, v2, v16 dst_sel:DWORD dst_unused:UNUSED_PAD src0_sel:DWORD src1_sel:WORD_0
	ds_write_b8 v1, v4
	s_waitcnt lgkmcnt(0)
	s_barrier
.LBB10_35:
	ds_read_u8 v1, v0
	ds_read_u8 v2, v0 offset:464
	s_waitcnt lgkmcnt(1)
	v_xor_b32_e32 v1, 0x7f, v1
	s_waitcnt lgkmcnt(0)
	v_xor_b32_e32 v2, 0x7f, v2
	global_store_byte v0, v1, s[34:35]
	global_store_byte v0, v2, s[34:35] offset:464
	s_endpgm
	.section	.rodata,"a",@progbits
	.p2align	6, 0x0
	.amdhsa_kernel _Z15sort_key_kernelILj464ELj2ELb1ELb1EcEvPT3_jj
		.amdhsa_group_segment_fixed_size 14880
		.amdhsa_private_segment_fixed_size 0
		.amdhsa_kernarg_size 16
		.amdhsa_user_sgpr_count 6
		.amdhsa_user_sgpr_private_segment_buffer 1
		.amdhsa_user_sgpr_dispatch_ptr 0
		.amdhsa_user_sgpr_queue_ptr 0
		.amdhsa_user_sgpr_kernarg_segment_ptr 1
		.amdhsa_user_sgpr_dispatch_id 0
		.amdhsa_user_sgpr_flat_scratch_init 0
		.amdhsa_user_sgpr_private_segment_size 0
		.amdhsa_uses_dynamic_stack 0
		.amdhsa_system_sgpr_private_segment_wavefront_offset 0
		.amdhsa_system_sgpr_workgroup_id_x 1
		.amdhsa_system_sgpr_workgroup_id_y 0
		.amdhsa_system_sgpr_workgroup_id_z 0
		.amdhsa_system_sgpr_workgroup_info 0
		.amdhsa_system_vgpr_workitem_id 0
		.amdhsa_next_free_vgpr 29
		.amdhsa_next_free_sgpr 61
		.amdhsa_reserve_vcc 1
		.amdhsa_reserve_flat_scratch 0
		.amdhsa_float_round_mode_32 0
		.amdhsa_float_round_mode_16_64 0
		.amdhsa_float_denorm_mode_32 3
		.amdhsa_float_denorm_mode_16_64 3
		.amdhsa_dx10_clamp 1
		.amdhsa_ieee_mode 1
		.amdhsa_fp16_overflow 0
		.amdhsa_exception_fp_ieee_invalid_op 0
		.amdhsa_exception_fp_denorm_src 0
		.amdhsa_exception_fp_ieee_div_zero 0
		.amdhsa_exception_fp_ieee_overflow 0
		.amdhsa_exception_fp_ieee_underflow 0
		.amdhsa_exception_fp_ieee_inexact 0
		.amdhsa_exception_int_div_zero 0
	.end_amdhsa_kernel
	.section	.text._Z15sort_key_kernelILj464ELj2ELb1ELb1EcEvPT3_jj,"axG",@progbits,_Z15sort_key_kernelILj464ELj2ELb1ELb1EcEvPT3_jj,comdat
.Lfunc_end10:
	.size	_Z15sort_key_kernelILj464ELj2ELb1ELb1EcEvPT3_jj, .Lfunc_end10-_Z15sort_key_kernelILj464ELj2ELb1ELb1EcEvPT3_jj
                                        ; -- End function
	.set _Z15sort_key_kernelILj464ELj2ELb1ELb1EcEvPT3_jj.num_vgpr, 29
	.set _Z15sort_key_kernelILj464ELj2ELb1ELb1EcEvPT3_jj.num_agpr, 0
	.set _Z15sort_key_kernelILj464ELj2ELb1ELb1EcEvPT3_jj.numbered_sgpr, 40
	.set _Z15sort_key_kernelILj464ELj2ELb1ELb1EcEvPT3_jj.num_named_barrier, 0
	.set _Z15sort_key_kernelILj464ELj2ELb1ELb1EcEvPT3_jj.private_seg_size, 0
	.set _Z15sort_key_kernelILj464ELj2ELb1ELb1EcEvPT3_jj.uses_vcc, 1
	.set _Z15sort_key_kernelILj464ELj2ELb1ELb1EcEvPT3_jj.uses_flat_scratch, 0
	.set _Z15sort_key_kernelILj464ELj2ELb1ELb1EcEvPT3_jj.has_dyn_sized_stack, 0
	.set _Z15sort_key_kernelILj464ELj2ELb1ELb1EcEvPT3_jj.has_recursion, 0
	.set _Z15sort_key_kernelILj464ELj2ELb1ELb1EcEvPT3_jj.has_indirect_call, 0
	.section	.AMDGPU.csdata,"",@progbits
; Kernel info:
; codeLenInByte = 3000
; TotalNumSgprs: 44
; NumVgprs: 29
; ScratchSize: 0
; MemoryBound: 0
; FloatMode: 240
; IeeeMode: 1
; LDSByteSize: 14880 bytes/workgroup (compile time only)
; SGPRBlocks: 8
; VGPRBlocks: 7
; NumSGPRsForWavesPerEU: 65
; NumVGPRsForWavesPerEU: 29
; Occupancy: 8
; WaveLimiterHint : 1
; COMPUTE_PGM_RSRC2:SCRATCH_EN: 0
; COMPUTE_PGM_RSRC2:USER_SGPR: 6
; COMPUTE_PGM_RSRC2:TRAP_HANDLER: 0
; COMPUTE_PGM_RSRC2:TGID_X_EN: 1
; COMPUTE_PGM_RSRC2:TGID_Y_EN: 0
; COMPUTE_PGM_RSRC2:TGID_Z_EN: 0
; COMPUTE_PGM_RSRC2:TIDIG_COMP_CNT: 0
	.section	.text._Z15sort_key_kernelILj33ELj5ELb0ELb0EdEvPT3_jj,"axG",@progbits,_Z15sort_key_kernelILj33ELj5ELb0ELb0EdEvPT3_jj,comdat
	.protected	_Z15sort_key_kernelILj33ELj5ELb0ELb0EdEvPT3_jj ; -- Begin function _Z15sort_key_kernelILj33ELj5ELb0ELb0EdEvPT3_jj
	.globl	_Z15sort_key_kernelILj33ELj5ELb0ELb0EdEvPT3_jj
	.p2align	8
	.type	_Z15sort_key_kernelILj33ELj5ELb0ELb0EdEvPT3_jj,@function
_Z15sort_key_kernelILj33ELj5ELb0ELb0EdEvPT3_jj: ; @_Z15sort_key_kernelILj33ELj5ELb0ELb0EdEvPT3_jj
; %bb.0:
	s_load_dwordx4 s[36:39], s[4:5], 0x0
	s_mul_i32 s0, s6, 0xa5
	s_mov_b32 s1, 0
	s_lshl_b64 s[0:1], s[0:1], 3
	v_mul_u32_u24_e32 v1, 5, v0
	s_waitcnt lgkmcnt(0)
	s_add_u32 s20, s36, s0
	s_addc_u32 s21, s37, s1
	v_lshlrev_b32_e32 v9, 3, v1
	global_load_dwordx4 v[1:4], v9, s[20:21]
	global_load_dwordx4 v[5:8], v9, s[20:21] offset:16
	global_load_dwordx2 v[19:20], v9, s[20:21] offset:32
	v_mbcnt_lo_u32_b32 v10, -1, 0
	v_mbcnt_hi_u32_b32 v10, -1, v10
	v_subrev_co_u32_e64 v13, s[6:7], 1, v10
	v_and_b32_e32 v14, 64, v10
	v_cmp_lt_i32_e32 vcc, v13, v14
	v_and_b32_e32 v11, 15, v10
	v_and_b32_e32 v12, 16, v10
	v_cmp_lt_u32_e64 s[4:5], 31, v10
	v_cndmask_b32_e32 v10, v13, v10, vcc
	s_cmp_eq_u32 s38, 0
	v_lshlrev_b32_e32 v35, 2, v10
	v_mov_b32_e32 v10, s21
	v_add_co_u32_e32 v9, vcc, s20, v9
	s_cselect_b64 s[20:21], -1, 0
	s_cmp_eq_u32 s39, 64
	s_cselect_b64 s[26:27], -1, 0
	v_addc_co_u32_e32 v10, vcc, 0, v10, vcc
	s_and_b64 s[20:21], s[20:21], s[26:27]
	s_and_b64 vcc, exec, s[20:21]
	v_bfrev_b32_e32 v37, 1
	v_cmp_eq_u32_e64 s[8:9], 0, v11
	v_cmp_lt_u32_e64 s[10:11], 1, v11
	v_cmp_lt_u32_e64 s[12:13], 3, v11
	;; [unrolled: 1-line block ×3, first 2 shown]
	s_movk_i32 s0, 0x108
	v_lshlrev_b32_e32 v34, 5, v0
	s_movk_i32 s24, 0xa5
	v_mov_b32_e32 v36, 0
	s_mov_b64 s[22:23], -1
	s_mov_b32 s34, -1
	v_cmp_gt_u32_e64 s[0:1], s0, v0
	v_cmp_eq_u32_e64 s[2:3], 32, v0
	v_cmp_gt_u32_e64 s[18:19], 33, v0
	v_lshl_add_u32 v33, v0, 3, v34
	v_cmp_eq_u32_e64 s[16:17], 0, v12
	s_waitcnt vmcnt(2)
	v_cmp_lt_i64_e64 s[20:21], -1, v[1:2]
	v_ashrrev_i32_e32 v13, 31, v2
	v_cndmask_b32_e64 v11, -1, v37, s[20:21]
	v_cmp_lt_i64_e64 s[20:21], -1, v[3:4]
	v_ashrrev_i32_e32 v15, 31, v4
	v_cndmask_b32_e64 v14, -1, v37, s[20:21]
	s_waitcnt vmcnt(1)
	v_cmp_lt_i64_e64 s[20:21], -1, v[5:6]
	v_ashrrev_i32_e32 v17, 31, v6
	v_cndmask_b32_e64 v16, -1, v37, s[20:21]
	v_cmp_lt_i64_e64 s[20:21], -1, v[7:8]
	v_ashrrev_i32_e32 v21, 31, v8
	v_cndmask_b32_e64 v18, -1, v37, s[20:21]
	s_waitcnt vmcnt(0)
	v_cmp_lt_i64_e64 s[20:21], -1, v[19:20]
	v_ashrrev_i32_e32 v23, 31, v20
	v_cndmask_b32_e64 v22, -1, v37, s[20:21]
	v_xor_b32_e32 v12, v11, v2
	v_xor_b32_e32 v11, v13, v1
	;; [unrolled: 1-line block ×10, first 2 shown]
	s_cbranch_vccnz .LBB11_17
; %bb.1:
	s_movk_i32 s20, 0xe7
	s_movk_i32 s22, 0xc6
	;; [unrolled: 1-line block ×5, first 2 shown]
	v_mov_b32_e32 v1, v11
	v_mov_b32_e32 v3, v13
	;; [unrolled: 1-line block ×5, first 2 shown]
	v_lshlrev_b32_e32 v38, 2, v0
	v_cmp_gt_u32_e64 s[20:21], s20, v0
	v_cmp_gt_u32_e64 s[22:23], s22, v0
	;; [unrolled: 1-line block ×6, first 2 shown]
	s_sub_i32 s33, s39, s38
	s_brev_b32 s35, -2
	v_mov_b32_e32 v2, v12
	v_mov_b32_e32 v4, v14
	v_mov_b32_e32 v6, v16
	v_mov_b32_e32 v8, v18
	v_mov_b32_e32 v39, 3
	v_mov_b32_e32 v31, v19
	s_branch .LBB11_3
.LBB11_2:                               ;   in Loop: Header=BB11_3 Depth=1
	s_andn2_b64 vcc, exec, s[36:37]
	s_cbranch_vccz .LBB11_16
.LBB11_3:                               ; =>This Inner Loop Header: Depth=1
	v_mov_b32_e32 v21, v31
	v_mov_b32_e32 v24, v8
	;; [unrolled: 1-line block ×10, first 2 shown]
	s_and_saveexec_b64 s[36:37], s[0:1]
	s_cbranch_execz .LBB11_12
; %bb.4:                                ;   in Loop: Header=BB11_3 Depth=1
	ds_write_b32 v38, v36
	s_and_b64 exec, exec, s[20:21]
	s_cbranch_execz .LBB11_12
; %bb.5:                                ;   in Loop: Header=BB11_3 Depth=1
	ds_write_b32 v38, v36 offset:132
	s_and_b64 exec, exec, s[22:23]
	s_cbranch_execz .LBB11_12
; %bb.6:                                ;   in Loop: Header=BB11_3 Depth=1
	ds_write_b32 v38, v36 offset:264
	;; [unrolled: 4-line block ×5, first 2 shown]
	s_and_b64 exec, exec, s[30:31]
	s_cbranch_execz .LBB11_12
; %bb.10:                               ;   in Loop: Header=BB11_3 Depth=1
	ds_write_b32 v38, v36 offset:792
	s_and_b64 exec, exec, s[18:19]
; %bb.11:                               ;   in Loop: Header=BB11_3 Depth=1
	ds_write_b32 v38, v36 offset:924
.LBB11_12:                              ;   in Loop: Header=BB11_3 Depth=1
	s_or_b64 exec, exec, s[36:37]
	v_cmp_ne_u64_e32 vcc, s[34:35], v[29:30]
	s_min_u32 s36, s33, 4
	v_cndmask_b32_e32 v2, v37, v30, vcc
	v_cndmask_b32_e32 v1, 0, v29, vcc
	s_lshl_b32 s36, -1, s36
	v_lshrrev_b64 v[1:2], s38, v[1:2]
	s_not_b32 s36, s36
	v_and_b32_e32 v1, s36, v1
	v_and_b32_e32 v2, 7, v1
	v_lshrrev_b32_e32 v1, 2, v1
	v_mad_u32_u24 v2, v2, 33, v0
	v_and_b32_e32 v1, 30, v1
	v_cmp_ne_u64_e32 vcc, s[34:35], v[27:28]
	v_lshl_add_u32 v32, v2, 2, v1
	ds_read_u16 v31, v32
	v_cndmask_b32_e32 v2, v37, v28, vcc
	v_cndmask_b32_e32 v1, 0, v27, vcc
	v_lshrrev_b64 v[1:2], s38, v[1:2]
	v_cmp_ne_u64_e32 vcc, s[34:35], v[25:26]
	v_and_b32_e32 v1, s36, v1
	v_and_b32_e32 v2, 7, v1
	v_lshrrev_b32_e32 v1, 2, v1
	s_waitcnt lgkmcnt(0)
	v_add_u16_e32 v3, 1, v31
	v_mad_u32_u24 v2, v2, 33, v0
	v_and_b32_e32 v1, 30, v1
	ds_write_b16 v32, v3
	v_lshl_add_u32 v41, v2, 2, v1
	ds_read_u16 v40, v41
	v_cndmask_b32_e32 v2, v37, v26, vcc
	v_cndmask_b32_e32 v1, 0, v25, vcc
	v_lshrrev_b64 v[1:2], s38, v[1:2]
	v_cmp_ne_u64_e32 vcc, s[34:35], v[23:24]
	v_and_b32_e32 v1, s36, v1
	v_and_b32_e32 v2, 7, v1
	v_lshrrev_b32_e32 v1, 2, v1
	s_waitcnt lgkmcnt(0)
	v_add_u16_e32 v3, 1, v40
	v_mad_u32_u24 v2, v2, 33, v0
	v_and_b32_e32 v1, 30, v1
	ds_write_b16 v41, v3
	;; [unrolled: 14-line block ×3, first 2 shown]
	v_lshl_add_u32 v45, v2, 2, v1
	ds_read_u16 v44, v45
	v_cndmask_b32_e32 v2, v37, v22, vcc
	v_cndmask_b32_e32 v1, 0, v21, vcc
	v_lshrrev_b64 v[1:2], s38, v[1:2]
	v_and_b32_e32 v1, s36, v1
	v_and_b32_e32 v2, 7, v1
	v_lshrrev_b32_e32 v1, 2, v1
	s_waitcnt lgkmcnt(0)
	v_add_u16_e32 v3, 1, v44
	v_mad_u32_u24 v2, v2, 33, v0
	v_and_b32_e32 v1, 30, v1
	ds_write_b16 v45, v3
	v_lshl_add_u32 v47, v2, 2, v1
	ds_read_u16 v46, v47
	s_waitcnt lgkmcnt(0)
	v_add_u16_e32 v1, 1, v46
	ds_write_b16 v47, v1
	s_waitcnt lgkmcnt(0)
	; wave barrier
	ds_read2_b64 v[5:8], v34 offset1:1
	ds_read2_b64 v[1:4], v34 offset0:2 offset1:3
	s_waitcnt lgkmcnt(1)
	v_add_u32_e32 v48, v6, v5
	v_add3_u32 v48, v48, v7, v8
	s_waitcnt lgkmcnt(0)
	v_add3_u32 v48, v48, v1, v2
	v_add3_u32 v4, v48, v3, v4
	s_nop 1
	v_mov_b32_dpp v48, v4 row_shr:1 row_mask:0xf bank_mask:0xf
	v_cndmask_b32_e64 v48, v48, 0, s[8:9]
	v_add_u32_e32 v4, v48, v4
	s_nop 1
	v_mov_b32_dpp v48, v4 row_shr:2 row_mask:0xf bank_mask:0xf
	v_cndmask_b32_e64 v48, 0, v48, s[10:11]
	v_add_u32_e32 v4, v4, v48
	;; [unrolled: 4-line block ×4, first 2 shown]
	s_nop 1
	v_mov_b32_dpp v48, v4 row_bcast:15 row_mask:0xf bank_mask:0xf
	v_cndmask_b32_e64 v48, v48, 0, s[16:17]
	v_add_u32_e32 v4, v4, v48
	s_nop 1
	v_mov_b32_dpp v48, v4 row_bcast:31 row_mask:0xf bank_mask:0xf
	v_cndmask_b32_e64 v48, 0, v48, s[4:5]
	v_add_u32_e32 v4, v4, v48
	s_and_saveexec_b64 s[36:37], s[2:3]
; %bb.13:                               ;   in Loop: Header=BB11_3 Depth=1
	ds_write_b32 v36, v4 offset:1056
; %bb.14:                               ;   in Loop: Header=BB11_3 Depth=1
	s_or_b64 exec, exec, s[36:37]
	ds_bpermute_b32 v4, v35, v4
	s_waitcnt lgkmcnt(0)
	; wave barrier
	ds_read_b32 v48, v36 offset:1056
	s_add_i32 s38, s38, 4
	v_cndmask_b32_e64 v4, v4, 0, s[6:7]
	s_cmp_ge_u32 s38, s39
	s_mov_b64 s[36:37], -1
	s_waitcnt lgkmcnt(0)
	v_lshl_add_u32 v4, v48, 16, v4
	v_add_u32_e32 v5, v4, v5
	v_add_u32_e32 v6, v5, v6
	;; [unrolled: 1-line block ×7, first 2 shown]
	ds_write2_b64 v34, v[4:5], v[6:7] offset1:1
	ds_write2_b64 v34, v[48:49], v[1:2] offset0:2 offset1:3
	s_waitcnt lgkmcnt(0)
	; wave barrier
	ds_read_u16 v1, v32
	ds_read_u16 v2, v41
	;; [unrolled: 1-line block ×5, first 2 shown]
	v_lshlrev_b32_sdwa v6, v39, v31 dst_sel:DWORD dst_unused:UNUSED_PAD src0_sel:DWORD src1_sel:WORD_0
	s_waitcnt lgkmcnt(4)
	v_lshl_add_u32 v41, v1, 3, v6
	v_lshlrev_b32_sdwa v1, v39, v40 dst_sel:DWORD dst_unused:UNUSED_PAD src0_sel:DWORD src1_sel:WORD_0
	s_waitcnt lgkmcnt(3)
	v_lshl_add_u32 v40, v2, 3, v1
	;; [unrolled: 3-line block ×5, first 2 shown]
                                        ; implicit-def: $vgpr31_vgpr32
                                        ; implicit-def: $vgpr7_vgpr8
                                        ; implicit-def: $vgpr3_vgpr4
	s_cbranch_scc1 .LBB11_2
; %bb.15:                               ;   in Loop: Header=BB11_3 Depth=1
	; wave barrier
	ds_write_b64 v41, v[29:30]
	ds_write_b64 v40, v[27:28]
	;; [unrolled: 1-line block ×5, first 2 shown]
	s_waitcnt lgkmcnt(0)
	; wave barrier
	ds_read2_b64 v[1:4], v33 offset1:1
	ds_read2_b64 v[5:8], v33 offset0:2 offset1:3
	ds_read_b64 v[31:32], v33 offset:32
	s_add_i32 s33, s33, -4
	s_mov_b64 s[36:37], 0
	s_waitcnt lgkmcnt(0)
	; wave barrier
	s_branch .LBB11_2
.LBB11_16:
	s_mov_b64 s[22:23], 0
	; wave barrier
	ds_write_b64 v41, v[29:30]
	ds_write_b64 v40, v[27:28]
	;; [unrolled: 1-line block ×5, first 2 shown]
	s_waitcnt lgkmcnt(0)
	; wave barrier
.LBB11_17:
	s_and_b64 vcc, exec, s[22:23]
	s_cbranch_vccz .LBB11_34
; %bb.18:
	v_mul_i32_i24_e32 v1, 0xffffffdc, v0
	s_movk_i32 s18, 0xe7
	s_movk_i32 s20, 0xc6
	;; [unrolled: 1-line block ×6, first 2 shown]
	v_add_u32_e32 v36, v33, v1
	s_mov_b32 s36, -1
	v_mov_b32_e32 v1, v11
	v_mov_b32_e32 v3, v13
	;; [unrolled: 1-line block ×5, first 2 shown]
	v_cmp_gt_u32_e64 s[18:19], s18, v0
	v_cmp_gt_u32_e64 s[20:21], s20, v0
	;; [unrolled: 1-line block ×7, first 2 shown]
	s_mov_b64 s[34:35], 0
	v_mov_b32_e32 v37, 0
	s_brev_b32 s37, -2
	v_bfrev_b32_e32 v38, 1
	v_mov_b32_e32 v2, v12
	v_mov_b32_e32 v4, v14
	;; [unrolled: 1-line block ×5, first 2 shown]
	s_branch .LBB11_20
.LBB11_19:                              ;   in Loop: Header=BB11_20 Depth=1
	s_andn2_b64 vcc, exec, s[38:39]
	s_cbranch_vccz .LBB11_33
.LBB11_20:                              ; =>This Inner Loop Header: Depth=1
	v_mov_b32_e32 v21, v31
	v_mov_b32_e32 v24, v8
	;; [unrolled: 1-line block ×10, first 2 shown]
	s_and_saveexec_b64 s[38:39], s[0:1]
	s_cbranch_execz .LBB11_29
; %bb.21:                               ;   in Loop: Header=BB11_20 Depth=1
	ds_write_b32 v36, v37
	s_and_b64 exec, exec, s[18:19]
	s_cbranch_execz .LBB11_29
; %bb.22:                               ;   in Loop: Header=BB11_20 Depth=1
	ds_write_b32 v36, v37 offset:132
	s_and_b64 exec, exec, s[20:21]
	s_cbranch_execz .LBB11_29
; %bb.23:                               ;   in Loop: Header=BB11_20 Depth=1
	ds_write_b32 v36, v37 offset:264
	;; [unrolled: 4-line block ×6, first 2 shown]
	s_and_b64 exec, exec, s[30:31]
; %bb.28:                               ;   in Loop: Header=BB11_20 Depth=1
	ds_write_b32 v36, v37 offset:924
.LBB11_29:                              ;   in Loop: Header=BB11_20 Depth=1
	s_or_b64 exec, exec, s[38:39]
	v_cmp_ne_u64_e32 vcc, s[36:37], v[29:30]
	v_cndmask_b32_e32 v2, v38, v30, vcc
	v_cndmask_b32_e32 v1, 0, v29, vcc
	v_lshrrev_b64 v[1:2], s34, v[1:2]
	v_cmp_ne_u64_e32 vcc, s[36:37], v[27:28]
	v_and_b32_e32 v2, 7, v1
	v_lshrrev_b32_e32 v1, 2, v1
	v_mad_u32_u24 v2, v2, 33, v0
	v_and_b32_e32 v1, 2, v1
	v_lshl_or_b32 v32, v2, 2, v1
	ds_read_u16 v31, v32
	v_cndmask_b32_e32 v2, v38, v28, vcc
	v_cndmask_b32_e32 v1, 0, v27, vcc
	v_lshrrev_b64 v[1:2], s34, v[1:2]
	v_cmp_ne_u64_e32 vcc, s[36:37], v[25:26]
	v_and_b32_e32 v2, 7, v1
	v_lshrrev_b32_e32 v1, 2, v1
	s_waitcnt lgkmcnt(0)
	v_add_u16_e32 v3, 1, v31
	v_mad_u32_u24 v2, v2, 33, v0
	v_and_b32_e32 v1, 2, v1
	ds_write_b16 v32, v3
	v_lshl_or_b32 v40, v2, 2, v1
	ds_read_u16 v39, v40
	v_cndmask_b32_e32 v2, v38, v26, vcc
	v_cndmask_b32_e32 v1, 0, v25, vcc
	v_lshrrev_b64 v[1:2], s34, v[1:2]
	v_cmp_ne_u64_e32 vcc, s[36:37], v[23:24]
	v_and_b32_e32 v2, 7, v1
	v_lshrrev_b32_e32 v1, 2, v1
	s_waitcnt lgkmcnt(0)
	v_add_u16_e32 v3, 1, v39
	v_mad_u32_u24 v2, v2, 33, v0
	v_and_b32_e32 v1, 2, v1
	ds_write_b16 v40, v3
	;; [unrolled: 13-line block ×3, first 2 shown]
	v_lshl_or_b32 v44, v2, 2, v1
	ds_read_u16 v43, v44
	v_cndmask_b32_e32 v2, v38, v22, vcc
	v_cndmask_b32_e32 v1, 0, v21, vcc
	v_lshrrev_b64 v[1:2], s34, v[1:2]
	v_and_b32_e32 v2, 7, v1
	v_lshrrev_b32_e32 v1, 2, v1
	s_waitcnt lgkmcnt(0)
	v_add_u16_e32 v3, 1, v43
	v_mad_u32_u24 v2, v2, 33, v0
	v_and_b32_e32 v1, 2, v1
	ds_write_b16 v44, v3
	v_lshl_or_b32 v46, v2, 2, v1
	ds_read_u16 v45, v46
	s_waitcnt lgkmcnt(0)
	v_add_u16_e32 v1, 1, v45
	ds_write_b16 v46, v1
	s_waitcnt lgkmcnt(0)
	; wave barrier
	ds_read2_b64 v[5:8], v34 offset1:1
	ds_read2_b64 v[1:4], v34 offset0:2 offset1:3
	s_waitcnt lgkmcnt(1)
	v_add_u32_e32 v47, v6, v5
	v_add3_u32 v47, v47, v7, v8
	s_waitcnt lgkmcnt(0)
	v_add3_u32 v47, v47, v1, v2
	v_add3_u32 v4, v47, v3, v4
	s_nop 1
	v_mov_b32_dpp v47, v4 row_shr:1 row_mask:0xf bank_mask:0xf
	v_cndmask_b32_e64 v47, v47, 0, s[8:9]
	v_add_u32_e32 v4, v47, v4
	s_nop 1
	v_mov_b32_dpp v47, v4 row_shr:2 row_mask:0xf bank_mask:0xf
	v_cndmask_b32_e64 v47, 0, v47, s[10:11]
	v_add_u32_e32 v4, v4, v47
	;; [unrolled: 4-line block ×4, first 2 shown]
	s_nop 1
	v_mov_b32_dpp v47, v4 row_bcast:15 row_mask:0xf bank_mask:0xf
	v_cndmask_b32_e64 v47, v47, 0, s[16:17]
	v_add_u32_e32 v4, v4, v47
	s_nop 1
	v_mov_b32_dpp v47, v4 row_bcast:31 row_mask:0xf bank_mask:0xf
	v_cndmask_b32_e64 v47, 0, v47, s[4:5]
	v_add_u32_e32 v4, v4, v47
	s_and_saveexec_b64 s[38:39], s[2:3]
; %bb.30:                               ;   in Loop: Header=BB11_20 Depth=1
	ds_write_b32 v37, v4 offset:1056
; %bb.31:                               ;   in Loop: Header=BB11_20 Depth=1
	s_or_b64 exec, exec, s[38:39]
	ds_bpermute_b32 v4, v35, v4
	s_waitcnt lgkmcnt(0)
	; wave barrier
	ds_read_b32 v47, v37 offset:1056
	s_mov_b64 s[38:39], -1
	v_cndmask_b32_e64 v4, v4, 0, s[6:7]
	s_cmp_gt_u32 s34, 59
	s_waitcnt lgkmcnt(0)
	v_lshl_add_u32 v4, v47, 16, v4
	v_add_u32_e32 v5, v4, v5
	v_add_u32_e32 v6, v5, v6
	;; [unrolled: 1-line block ×7, first 2 shown]
	ds_write2_b64 v34, v[4:5], v[6:7] offset1:1
	ds_write2_b64 v34, v[47:48], v[1:2] offset0:2 offset1:3
	s_waitcnt lgkmcnt(0)
	; wave barrier
	ds_read_u16 v1, v32
	ds_read_u16 v2, v40
	;; [unrolled: 1-line block ×5, first 2 shown]
	s_waitcnt lgkmcnt(4)
	v_add_u32_sdwa v44, v1, v31 dst_sel:DWORD dst_unused:UNUSED_PAD src0_sel:DWORD src1_sel:WORD_0
	s_waitcnt lgkmcnt(3)
	v_add_u32_sdwa v42, v2, v39 dst_sel:DWORD dst_unused:UNUSED_PAD src0_sel:DWORD src1_sel:WORD_0
	;; [unrolled: 2-line block ×5, first 2 shown]
	v_mov_b32_e32 v32, v20
	v_mov_b32_e32 v7, v17
	;; [unrolled: 1-line block ×10, first 2 shown]
	s_cbranch_scc1 .LBB11_19
; %bb.32:                               ;   in Loop: Header=BB11_20 Depth=1
	v_lshlrev_b32_e32 v1, 3, v44
	; wave barrier
	ds_write_b64 v1, v[29:30]
	v_lshlrev_b32_e32 v1, 3, v42
	ds_write_b64 v1, v[27:28]
	v_lshlrev_b32_e32 v1, 3, v41
	;; [unrolled: 2-line block ×4, first 2 shown]
	ds_write_b64 v1, v[21:22]
	s_waitcnt lgkmcnt(0)
	; wave barrier
	ds_read2_b64 v[1:4], v33 offset1:1
	ds_read2_b64 v[5:8], v33 offset0:2 offset1:3
	ds_read_b64 v[31:32], v33 offset:32
	s_add_u32 s34, s34, 4
	s_addc_u32 s35, s35, 0
	s_mov_b64 s[38:39], 0
	s_waitcnt lgkmcnt(0)
	; wave barrier
	s_branch .LBB11_19
.LBB11_33:
	v_lshlrev_b32_e32 v0, 3, v44
	; wave barrier
	ds_write_b64 v0, v[29:30]
	v_lshlrev_b32_e32 v0, 3, v42
	ds_write_b64 v0, v[27:28]
	v_lshlrev_b32_e32 v0, 3, v41
	;; [unrolled: 2-line block ×4, first 2 shown]
	ds_write_b64 v0, v[21:22]
	s_waitcnt lgkmcnt(0)
	; wave barrier
.LBB11_34:
	ds_read2_b64 v[0:3], v33 offset1:1
	ds_read2_b64 v[4:7], v33 offset0:2 offset1:3
	ds_read_b64 v[11:12], v33 offset:32
	v_bfrev_b32_e32 v8, 1
	s_waitcnt lgkmcnt(2)
	v_cmp_lt_i64_e32 vcc, -1, v[0:1]
	v_ashrrev_i32_e32 v14, 31, v1
	v_cndmask_b32_e64 v13, v8, -1, vcc
	v_cmp_lt_i64_e32 vcc, -1, v[2:3]
	v_not_b32_e32 v14, v14
	v_xor_b32_e32 v1, v13, v1
	v_cndmask_b32_e64 v13, v8, -1, vcc
	s_waitcnt lgkmcnt(1)
	v_cmp_lt_i64_e32 vcc, -1, v[4:5]
	v_xor_b32_e32 v0, v14, v0
	v_ashrrev_i32_e32 v14, 31, v3
	v_not_b32_e32 v14, v14
	v_xor_b32_e32 v3, v13, v3
	v_cndmask_b32_e64 v13, v8, -1, vcc
	v_cmp_lt_i64_e32 vcc, -1, v[6:7]
	v_xor_b32_e32 v2, v14, v2
	v_ashrrev_i32_e32 v14, 31, v5
	v_not_b32_e32 v14, v14
	v_xor_b32_e32 v5, v13, v5
	v_cndmask_b32_e64 v13, v8, -1, vcc
	s_waitcnt lgkmcnt(0)
	v_cmp_lt_i64_e32 vcc, -1, v[11:12]
	v_xor_b32_e32 v4, v14, v4
	v_ashrrev_i32_e32 v14, 31, v7
	v_xor_b32_e32 v7, v13, v7
	v_ashrrev_i32_e32 v13, 31, v12
	v_not_b32_e32 v14, v14
	v_cndmask_b32_e64 v8, v8, -1, vcc
	v_not_b32_e32 v13, v13
	v_xor_b32_e32 v6, v14, v6
	v_xor_b32_e32 v12, v8, v12
	;; [unrolled: 1-line block ×3, first 2 shown]
	global_store_dwordx4 v[9:10], v[0:3], off
	global_store_dwordx4 v[9:10], v[4:7], off offset:16
	global_store_dwordx2 v[9:10], v[11:12], off offset:32
	s_endpgm
	.section	.rodata,"a",@progbits
	.p2align	6, 0x0
	.amdhsa_kernel _Z15sort_key_kernelILj33ELj5ELb0ELb0EdEvPT3_jj
		.amdhsa_group_segment_fixed_size 1328
		.amdhsa_private_segment_fixed_size 0
		.amdhsa_kernarg_size 16
		.amdhsa_user_sgpr_count 6
		.amdhsa_user_sgpr_private_segment_buffer 1
		.amdhsa_user_sgpr_dispatch_ptr 0
		.amdhsa_user_sgpr_queue_ptr 0
		.amdhsa_user_sgpr_kernarg_segment_ptr 1
		.amdhsa_user_sgpr_dispatch_id 0
		.amdhsa_user_sgpr_flat_scratch_init 0
		.amdhsa_user_sgpr_private_segment_size 0
		.amdhsa_uses_dynamic_stack 0
		.amdhsa_system_sgpr_private_segment_wavefront_offset 0
		.amdhsa_system_sgpr_workgroup_id_x 1
		.amdhsa_system_sgpr_workgroup_id_y 0
		.amdhsa_system_sgpr_workgroup_id_z 0
		.amdhsa_system_sgpr_workgroup_info 0
		.amdhsa_system_vgpr_workitem_id 0
		.amdhsa_next_free_vgpr 50
		.amdhsa_next_free_sgpr 40
		.amdhsa_reserve_vcc 1
		.amdhsa_reserve_flat_scratch 0
		.amdhsa_float_round_mode_32 0
		.amdhsa_float_round_mode_16_64 0
		.amdhsa_float_denorm_mode_32 3
		.amdhsa_float_denorm_mode_16_64 3
		.amdhsa_dx10_clamp 1
		.amdhsa_ieee_mode 1
		.amdhsa_fp16_overflow 0
		.amdhsa_exception_fp_ieee_invalid_op 0
		.amdhsa_exception_fp_denorm_src 0
		.amdhsa_exception_fp_ieee_div_zero 0
		.amdhsa_exception_fp_ieee_overflow 0
		.amdhsa_exception_fp_ieee_underflow 0
		.amdhsa_exception_fp_ieee_inexact 0
		.amdhsa_exception_int_div_zero 0
	.end_amdhsa_kernel
	.section	.text._Z15sort_key_kernelILj33ELj5ELb0ELb0EdEvPT3_jj,"axG",@progbits,_Z15sort_key_kernelILj33ELj5ELb0ELb0EdEvPT3_jj,comdat
.Lfunc_end11:
	.size	_Z15sort_key_kernelILj33ELj5ELb0ELb0EdEvPT3_jj, .Lfunc_end11-_Z15sort_key_kernelILj33ELj5ELb0ELb0EdEvPT3_jj
                                        ; -- End function
	.set _Z15sort_key_kernelILj33ELj5ELb0ELb0EdEvPT3_jj.num_vgpr, 50
	.set _Z15sort_key_kernelILj33ELj5ELb0ELb0EdEvPT3_jj.num_agpr, 0
	.set _Z15sort_key_kernelILj33ELj5ELb0ELb0EdEvPT3_jj.numbered_sgpr, 40
	.set _Z15sort_key_kernelILj33ELj5ELb0ELb0EdEvPT3_jj.num_named_barrier, 0
	.set _Z15sort_key_kernelILj33ELj5ELb0ELb0EdEvPT3_jj.private_seg_size, 0
	.set _Z15sort_key_kernelILj33ELj5ELb0ELb0EdEvPT3_jj.uses_vcc, 1
	.set _Z15sort_key_kernelILj33ELj5ELb0ELb0EdEvPT3_jj.uses_flat_scratch, 0
	.set _Z15sort_key_kernelILj33ELj5ELb0ELb0EdEvPT3_jj.has_dyn_sized_stack, 0
	.set _Z15sort_key_kernelILj33ELj5ELb0ELb0EdEvPT3_jj.has_recursion, 0
	.set _Z15sort_key_kernelILj33ELj5ELb0ELb0EdEvPT3_jj.has_indirect_call, 0
	.section	.AMDGPU.csdata,"",@progbits
; Kernel info:
; codeLenInByte = 3240
; TotalNumSgprs: 44
; NumVgprs: 50
; ScratchSize: 0
; MemoryBound: 0
; FloatMode: 240
; IeeeMode: 1
; LDSByteSize: 1328 bytes/workgroup (compile time only)
; SGPRBlocks: 5
; VGPRBlocks: 12
; NumSGPRsForWavesPerEU: 44
; NumVGPRsForWavesPerEU: 50
; Occupancy: 4
; WaveLimiterHint : 0
; COMPUTE_PGM_RSRC2:SCRATCH_EN: 0
; COMPUTE_PGM_RSRC2:USER_SGPR: 6
; COMPUTE_PGM_RSRC2:TRAP_HANDLER: 0
; COMPUTE_PGM_RSRC2:TGID_X_EN: 1
; COMPUTE_PGM_RSRC2:TGID_Y_EN: 0
; COMPUTE_PGM_RSRC2:TGID_Z_EN: 0
; COMPUTE_PGM_RSRC2:TIDIG_COMP_CNT: 0
	.section	.text._Z15sort_key_kernelILj256ELj7ELb0ELb0EtEvPT3_jj,"axG",@progbits,_Z15sort_key_kernelILj256ELj7ELb0ELb0EtEvPT3_jj,comdat
	.protected	_Z15sort_key_kernelILj256ELj7ELb0ELb0EtEvPT3_jj ; -- Begin function _Z15sort_key_kernelILj256ELj7ELb0ELb0EtEvPT3_jj
	.globl	_Z15sort_key_kernelILj256ELj7ELb0ELb0EtEvPT3_jj
	.p2align	8
	.type	_Z15sort_key_kernelILj256ELj7ELb0ELb0EtEvPT3_jj,@function
_Z15sort_key_kernelILj256ELj7ELb0ELb0EtEvPT3_jj: ; @_Z15sort_key_kernelILj256ELj7ELb0ELb0EtEvPT3_jj
; %bb.0:
	s_load_dwordx4 s[28:31], s[4:5], 0x0
	s_mul_i32 s34, s6, 0x700
	s_mov_b32 s35, 0
	s_lshl_b64 s[0:1], s[34:35], 1
	v_mul_u32_u24_e32 v3, 7, v0
	s_waitcnt lgkmcnt(0)
	s_add_u32 s12, s28, s0
	s_addc_u32 s13, s29, s1
	v_lshlrev_b32_e32 v15, 1, v3
	global_load_dwordx3 v[3:5], v15, s[12:13]
	global_load_ushort v6, v15, s[12:13] offset:12
	v_mbcnt_lo_u32_b32 v7, -1, 0
	v_mbcnt_hi_u32_b32 v19, -1, v7
	v_lshrrev_b32_e32 v7, 6, v0
	v_mul_u32_u24_e32 v8, 0x1c0, v7
	v_lshlrev_b32_e32 v18, 1, v19
	v_lshlrev_b32_e32 v17, 2, v7
	;; [unrolled: 1-line block ×3, first 2 shown]
	s_cmp_lg_u32 s30, 0
	v_mad_u32_u24 v10, v19, 14, v7
	v_add_u32_e32 v25, v18, v7
	v_mov_b32_e32 v8, s13
	v_add_co_u32_e32 v7, vcc, s12, v15
	s_cselect_b64 s[12:13], -1, 0
	s_cmp_lg_u32 s31, 16
	s_cselect_b64 s[14:15], -1, 0
	v_addc_co_u32_e32 v8, vcc, 0, v8, vcc
	s_or_b64 s[12:13], s[12:13], s[14:15]
	v_mov_b32_e32 v9, 0
	s_mov_b64 s[10:11], -1
	v_lshlrev_b32_e32 v16, 4, v0
	v_cmp_gt_u32_e64 s[0:1], 4, v0
	v_cmp_lt_u32_e64 s[2:3], 63, v0
	v_cmp_eq_u32_e64 s[6:7], 0, v0
	v_mul_i32_i24_e32 v21, -12, v0
	v_and_b32_e32 v23, 15, v19
	v_and_b32_e32 v24, 16, v19
	v_cmp_lt_u32_e64 s[8:9], 31, v19
	v_and_b32_e32 v20, 64, v19
	v_and_b32_e32 v22, 3, v19
	s_and_b64 vcc, exec, s[12:13]
	s_waitcnt vmcnt(1)
	ds_write_b96 v10, v[3:5]
	s_waitcnt vmcnt(0)
	ds_write_b16 v10, v6 offset:12
	s_cbranch_vccz .LBB12_26
; %bb.1:
	; wave barrier
	ds_read_u16 v6, v25
	ds_read_u16 v10, v25 offset:128
	ds_read_u16 v11, v25 offset:256
	;; [unrolled: 1-line block ×6, first 2 shown]
	s_waitcnt lgkmcnt(0)
	s_barrier
	; wave barrier
	s_barrier
	s_load_dword s10, s[4:5], 0x1c
	s_mov_b32 s33, 0x5040100
	s_mov_b32 s34, s35
	s_mov_b32 s28, s35
	v_perm_b32 v40, v12, v11, s33
	s_waitcnt lgkmcnt(0)
	s_lshr_b32 s11, s10, 16
	s_and_b32 s10, s10, 0xffff
	v_mad_u32_u24 v4, v2, s11, v1
	v_mad_u64_u32 v[4:5], s[10:11], v4, s10, v[0:1]
	v_and_b32_e32 v5, 0xc0, v0
	v_or_b32_e32 v26, 63, v5
	v_cmp_eq_u32_e64 s[20:21], v0, v26
	v_subrev_co_u32_e64 v26, s[22:23], 1, v19
	v_cmp_lt_i32_e32 vcc, v26, v20
	v_cndmask_b32_e32 v26, v26, v19, vcc
	v_mul_u32_u24_e32 v5, 14, v5
	v_lshrrev_b32_e32 v4, 4, v4
	v_perm_b32 v41, v14, v13, s33
	s_mov_b32 s29, s35
	v_mov_b32_e32 v11, s34
	v_mov_b32_e32 v13, s28
	v_cmp_eq_u32_e64 s[10:11], 0, v23
	v_cmp_lt_u32_e64 s[12:13], 1, v23
	v_cmp_lt_u32_e64 s[14:15], 3, v23
	;; [unrolled: 1-line block ×3, first 2 shown]
	v_cmp_eq_u32_e64 s[18:19], 0, v24
	v_lshlrev_b32_e32 v26, 2, v26
	v_cmp_eq_u32_e64 s[24:25], 0, v22
	v_cmp_lt_u32_e64 s[26:27], 1, v22
	v_add_u32_e32 v27, -4, v17
	v_and_b32_e32 v28, 0xffffffc, v4
	v_perm_b32 v34, v10, v6, s33
	s_sub_i32 s36, s31, s30
	v_mov_b32_e32 v12, s35
	v_mov_b32_e32 v14, s29
	v_add_u32_e32 v29, v16, v21
	v_add_u32_e32 v31, v18, v5
	s_branch .LBB12_3
.LBB12_2:                               ;   in Loop: Header=BB12_3 Depth=1
	s_andn2_b64 vcc, exec, s[28:29]
	s_cbranch_vccz .LBB12_25
.LBB12_3:                               ; =>This Inner Loop Header: Depth=1
	s_min_u32 s28, s36, 8
	s_lshl_b32 s28, -1, s28
	v_mov_b32_e32 v30, v3
	s_not_b32 s34, s28
	v_lshrrev_b32_sdwa v3, s30, v34 dst_sel:DWORD dst_unused:UNUSED_PAD src0_sel:DWORD src1_sel:WORD_0
	v_and_b32_e32 v3, s34, v3
	v_and_b32_e32 v4, 1, v3
	v_add_co_u32_e32 v6, vcc, -1, v4
	v_addc_co_u32_e64 v10, s[28:29], 0, -1, vcc
	v_cmp_ne_u32_e32 vcc, 0, v4
	v_xor_b32_e32 v4, vcc_hi, v10
	v_lshlrev_b32_e32 v10, 30, v3
	v_xor_b32_e32 v6, vcc_lo, v6
	v_cmp_gt_i64_e32 vcc, 0, v[9:10]
	v_not_b32_e32 v10, v10
	v_ashrrev_i32_e32 v10, 31, v10
	v_and_b32_e32 v6, exec_lo, v6
	v_xor_b32_e32 v35, vcc_hi, v10
	v_xor_b32_e32 v10, vcc_lo, v10
	v_and_b32_e32 v6, v6, v10
	v_lshlrev_b32_e32 v10, 29, v3
	v_cmp_gt_i64_e32 vcc, 0, v[9:10]
	v_not_b32_e32 v10, v10
	v_and_b32_e32 v4, exec_hi, v4
	v_ashrrev_i32_e32 v10, 31, v10
	v_and_b32_e32 v4, v4, v35
	v_xor_b32_e32 v35, vcc_hi, v10
	v_xor_b32_e32 v10, vcc_lo, v10
	v_and_b32_e32 v6, v6, v10
	v_lshlrev_b32_e32 v10, 28, v3
	v_cmp_gt_i64_e32 vcc, 0, v[9:10]
	v_not_b32_e32 v10, v10
	v_ashrrev_i32_e32 v10, 31, v10
	v_and_b32_e32 v4, v4, v35
	v_xor_b32_e32 v35, vcc_hi, v10
	v_xor_b32_e32 v10, vcc_lo, v10
	v_and_b32_e32 v6, v6, v10
	v_lshlrev_b32_e32 v10, 27, v3
	v_cmp_gt_i64_e32 vcc, 0, v[9:10]
	v_not_b32_e32 v10, v10
	;; [unrolled: 8-line block ×4, first 2 shown]
	v_ashrrev_i32_e32 v10, 31, v10
	v_and_b32_e32 v4, v4, v35
	v_xor_b32_e32 v35, vcc_hi, v10
	v_xor_b32_e32 v10, vcc_lo, v10
	v_and_b32_e32 v6, v6, v10
	v_lshlrev_b32_e32 v10, 24, v3
	v_lshlrev_b32_e32 v5, 4, v3
	v_cmp_gt_i64_e32 vcc, 0, v[9:10]
	v_not_b32_e32 v3, v10
	v_ashrrev_i32_e32 v3, 31, v3
	v_xor_b32_e32 v10, vcc_hi, v3
	v_xor_b32_e32 v3, vcc_lo, v3
	v_and_b32_e32 v4, v4, v35
	v_and_b32_e32 v3, v6, v3
	;; [unrolled: 1-line block ×3, first 2 shown]
	v_mbcnt_lo_u32_b32 v6, v3, 0
	v_mbcnt_hi_u32_b32 v36, v4, v6
	v_cmp_ne_u64_e32 vcc, 0, v[3:4]
	v_cmp_eq_u32_e64 s[28:29], 0, v36
	v_mov_b32_e32 v32, v41
	v_mov_b32_e32 v33, v40
	s_and_b64 s[38:39], vcc, s[28:29]
	v_add_u32_e32 v37, v28, v5
	ds_write2_b64 v16, v[11:12], v[13:14] offset0:2 offset1:3
	s_waitcnt lgkmcnt(0)
	s_barrier
	; wave barrier
	s_and_saveexec_b64 s[28:29], s[38:39]
; %bb.4:                                ;   in Loop: Header=BB12_3 Depth=1
	v_bcnt_u32_b32 v3, v3, 0
	v_bcnt_u32_b32 v3, v4, v3
	ds_write_b32 v37, v3 offset:16
; %bb.5:                                ;   in Loop: Header=BB12_3 Depth=1
	s_or_b64 exec, exec, s[28:29]
	v_lshrrev_b32_e32 v35, 16, v34
	v_lshrrev_b32_e32 v3, s30, v35
	v_and_b32_e32 v3, s34, v3
	v_lshlrev_b32_e32 v4, 4, v3
	v_add_u32_e32 v39, v28, v4
	v_and_b32_e32 v4, 1, v3
	v_add_co_u32_e32 v5, vcc, -1, v4
	v_addc_co_u32_e64 v6, s[28:29], 0, -1, vcc
	v_cmp_ne_u32_e32 vcc, 0, v4
	v_lshlrev_b32_e32 v10, 30, v3
	v_xor_b32_e32 v4, vcc_hi, v6
	v_xor_b32_e32 v5, vcc_lo, v5
	v_cmp_gt_i64_e32 vcc, 0, v[9:10]
	v_not_b32_e32 v6, v10
	v_ashrrev_i32_e32 v6, 31, v6
	v_and_b32_e32 v4, exec_hi, v4
	v_xor_b32_e32 v10, vcc_hi, v6
	v_and_b32_e32 v5, exec_lo, v5
	v_xor_b32_e32 v6, vcc_lo, v6
	v_and_b32_e32 v4, v4, v10
	v_lshlrev_b32_e32 v10, 29, v3
	v_and_b32_e32 v5, v5, v6
	v_cmp_gt_i64_e32 vcc, 0, v[9:10]
	v_not_b32_e32 v6, v10
	v_ashrrev_i32_e32 v6, 31, v6
	v_xor_b32_e32 v10, vcc_hi, v6
	v_xor_b32_e32 v6, vcc_lo, v6
	v_and_b32_e32 v4, v4, v10
	v_lshlrev_b32_e32 v10, 28, v3
	v_and_b32_e32 v5, v5, v6
	v_cmp_gt_i64_e32 vcc, 0, v[9:10]
	v_not_b32_e32 v6, v10
	v_ashrrev_i32_e32 v6, 31, v6
	v_xor_b32_e32 v10, vcc_hi, v6
	;; [unrolled: 8-line block ×5, first 2 shown]
	v_and_b32_e32 v4, v4, v10
	v_lshlrev_b32_e32 v10, 24, v3
	v_xor_b32_e32 v6, vcc_lo, v6
	v_cmp_gt_i64_e32 vcc, 0, v[9:10]
	v_not_b32_e32 v3, v10
	v_ashrrev_i32_e32 v3, 31, v3
	v_and_b32_e32 v5, v5, v6
	v_xor_b32_e32 v6, vcc_hi, v3
	v_xor_b32_e32 v3, vcc_lo, v3
	; wave barrier
	ds_read_b32 v38, v39 offset:16
	v_and_b32_e32 v3, v5, v3
	v_and_b32_e32 v4, v4, v6
	v_mbcnt_lo_u32_b32 v5, v3, 0
	v_mbcnt_hi_u32_b32 v40, v4, v5
	v_cmp_ne_u64_e32 vcc, 0, v[3:4]
	v_cmp_eq_u32_e64 s[28:29], 0, v40
	s_and_b64 s[38:39], vcc, s[28:29]
	; wave barrier
	s_and_saveexec_b64 s[28:29], s[38:39]
	s_cbranch_execz .LBB12_7
; %bb.6:                                ;   in Loop: Header=BB12_3 Depth=1
	v_bcnt_u32_b32 v3, v3, 0
	v_bcnt_u32_b32 v3, v4, v3
	s_waitcnt lgkmcnt(0)
	v_add_u32_e32 v3, v38, v3
	ds_write_b32 v39, v3 offset:16
.LBB12_7:                               ;   in Loop: Header=BB12_3 Depth=1
	s_or_b64 exec, exec, s[28:29]
	v_lshrrev_b32_sdwa v3, s30, v33 dst_sel:DWORD dst_unused:UNUSED_PAD src0_sel:DWORD src1_sel:WORD_0
	v_and_b32_e32 v3, s34, v3
	v_lshlrev_b32_e32 v4, 4, v3
	v_add_u32_e32 v42, v28, v4
	v_and_b32_e32 v4, 1, v3
	v_add_co_u32_e32 v5, vcc, -1, v4
	v_addc_co_u32_e64 v6, s[28:29], 0, -1, vcc
	v_cmp_ne_u32_e32 vcc, 0, v4
	v_lshlrev_b32_e32 v10, 30, v3
	v_xor_b32_e32 v4, vcc_hi, v6
	v_xor_b32_e32 v5, vcc_lo, v5
	v_cmp_gt_i64_e32 vcc, 0, v[9:10]
	v_not_b32_e32 v6, v10
	v_ashrrev_i32_e32 v6, 31, v6
	v_and_b32_e32 v4, exec_hi, v4
	v_xor_b32_e32 v10, vcc_hi, v6
	v_and_b32_e32 v5, exec_lo, v5
	v_xor_b32_e32 v6, vcc_lo, v6
	v_and_b32_e32 v4, v4, v10
	v_lshlrev_b32_e32 v10, 29, v3
	v_and_b32_e32 v5, v5, v6
	v_cmp_gt_i64_e32 vcc, 0, v[9:10]
	v_not_b32_e32 v6, v10
	v_ashrrev_i32_e32 v6, 31, v6
	v_xor_b32_e32 v10, vcc_hi, v6
	v_xor_b32_e32 v6, vcc_lo, v6
	v_and_b32_e32 v4, v4, v10
	v_lshlrev_b32_e32 v10, 28, v3
	v_and_b32_e32 v5, v5, v6
	v_cmp_gt_i64_e32 vcc, 0, v[9:10]
	v_not_b32_e32 v6, v10
	v_ashrrev_i32_e32 v6, 31, v6
	v_xor_b32_e32 v10, vcc_hi, v6
	;; [unrolled: 8-line block ×5, first 2 shown]
	v_and_b32_e32 v4, v4, v10
	v_lshlrev_b32_e32 v10, 24, v3
	v_xor_b32_e32 v6, vcc_lo, v6
	v_cmp_gt_i64_e32 vcc, 0, v[9:10]
	v_not_b32_e32 v3, v10
	v_ashrrev_i32_e32 v3, 31, v3
	v_and_b32_e32 v5, v5, v6
	v_xor_b32_e32 v6, vcc_hi, v3
	v_xor_b32_e32 v3, vcc_lo, v3
	; wave barrier
	ds_read_b32 v41, v42 offset:16
	v_and_b32_e32 v3, v5, v3
	v_and_b32_e32 v4, v4, v6
	v_mbcnt_lo_u32_b32 v5, v3, 0
	v_mbcnt_hi_u32_b32 v44, v4, v5
	v_cmp_ne_u64_e32 vcc, 0, v[3:4]
	v_cmp_eq_u32_e64 s[28:29], 0, v44
	s_and_b64 s[38:39], vcc, s[28:29]
	; wave barrier
	s_and_saveexec_b64 s[28:29], s[38:39]
	s_cbranch_execz .LBB12_9
; %bb.8:                                ;   in Loop: Header=BB12_3 Depth=1
	v_bcnt_u32_b32 v3, v3, 0
	v_bcnt_u32_b32 v3, v4, v3
	s_waitcnt lgkmcnt(0)
	v_add_u32_e32 v3, v41, v3
	ds_write_b32 v42, v3 offset:16
.LBB12_9:                               ;   in Loop: Header=BB12_3 Depth=1
	s_or_b64 exec, exec, s[28:29]
	v_lshrrev_b32_e32 v43, 16, v33
	v_lshrrev_b32_e32 v3, s30, v43
	v_and_b32_e32 v3, s34, v3
	v_lshlrev_b32_e32 v4, 4, v3
	v_add_u32_e32 v46, v28, v4
	v_and_b32_e32 v4, 1, v3
	v_add_co_u32_e32 v5, vcc, -1, v4
	v_addc_co_u32_e64 v6, s[28:29], 0, -1, vcc
	v_cmp_ne_u32_e32 vcc, 0, v4
	v_lshlrev_b32_e32 v10, 30, v3
	v_xor_b32_e32 v4, vcc_hi, v6
	v_xor_b32_e32 v5, vcc_lo, v5
	v_cmp_gt_i64_e32 vcc, 0, v[9:10]
	v_not_b32_e32 v6, v10
	v_ashrrev_i32_e32 v6, 31, v6
	v_and_b32_e32 v4, exec_hi, v4
	v_xor_b32_e32 v10, vcc_hi, v6
	v_and_b32_e32 v5, exec_lo, v5
	v_xor_b32_e32 v6, vcc_lo, v6
	v_and_b32_e32 v4, v4, v10
	v_lshlrev_b32_e32 v10, 29, v3
	v_and_b32_e32 v5, v5, v6
	v_cmp_gt_i64_e32 vcc, 0, v[9:10]
	v_not_b32_e32 v6, v10
	v_ashrrev_i32_e32 v6, 31, v6
	v_xor_b32_e32 v10, vcc_hi, v6
	v_xor_b32_e32 v6, vcc_lo, v6
	v_and_b32_e32 v4, v4, v10
	v_lshlrev_b32_e32 v10, 28, v3
	v_and_b32_e32 v5, v5, v6
	v_cmp_gt_i64_e32 vcc, 0, v[9:10]
	v_not_b32_e32 v6, v10
	v_ashrrev_i32_e32 v6, 31, v6
	v_xor_b32_e32 v10, vcc_hi, v6
	v_xor_b32_e32 v6, vcc_lo, v6
	v_and_b32_e32 v4, v4, v10
	v_lshlrev_b32_e32 v10, 27, v3
	v_and_b32_e32 v5, v5, v6
	v_cmp_gt_i64_e32 vcc, 0, v[9:10]
	v_not_b32_e32 v6, v10
	v_ashrrev_i32_e32 v6, 31, v6
	v_xor_b32_e32 v10, vcc_hi, v6
	v_xor_b32_e32 v6, vcc_lo, v6
	v_and_b32_e32 v4, v4, v10
	v_lshlrev_b32_e32 v10, 26, v3
	v_and_b32_e32 v5, v5, v6
	v_cmp_gt_i64_e32 vcc, 0, v[9:10]
	v_not_b32_e32 v6, v10
	v_ashrrev_i32_e32 v6, 31, v6
	v_xor_b32_e32 v10, vcc_hi, v6
	v_xor_b32_e32 v6, vcc_lo, v6
	v_and_b32_e32 v4, v4, v10
	v_lshlrev_b32_e32 v10, 25, v3
	v_and_b32_e32 v5, v5, v6
	v_cmp_gt_i64_e32 vcc, 0, v[9:10]
	v_not_b32_e32 v6, v10
	v_ashrrev_i32_e32 v6, 31, v6
	v_xor_b32_e32 v10, vcc_hi, v6
	v_and_b32_e32 v4, v4, v10
	v_lshlrev_b32_e32 v10, 24, v3
	v_xor_b32_e32 v6, vcc_lo, v6
	v_cmp_gt_i64_e32 vcc, 0, v[9:10]
	v_not_b32_e32 v3, v10
	v_ashrrev_i32_e32 v3, 31, v3
	v_and_b32_e32 v5, v5, v6
	v_xor_b32_e32 v6, vcc_hi, v3
	v_xor_b32_e32 v3, vcc_lo, v3
	; wave barrier
	ds_read_b32 v45, v46 offset:16
	v_and_b32_e32 v3, v5, v3
	v_and_b32_e32 v4, v4, v6
	v_mbcnt_lo_u32_b32 v5, v3, 0
	v_mbcnt_hi_u32_b32 v47, v4, v5
	v_cmp_ne_u64_e32 vcc, 0, v[3:4]
	v_cmp_eq_u32_e64 s[28:29], 0, v47
	s_and_b64 s[38:39], vcc, s[28:29]
	; wave barrier
	s_and_saveexec_b64 s[28:29], s[38:39]
	s_cbranch_execz .LBB12_11
; %bb.10:                               ;   in Loop: Header=BB12_3 Depth=1
	v_bcnt_u32_b32 v3, v3, 0
	v_bcnt_u32_b32 v3, v4, v3
	s_waitcnt lgkmcnt(0)
	v_add_u32_e32 v3, v45, v3
	ds_write_b32 v46, v3 offset:16
.LBB12_11:                              ;   in Loop: Header=BB12_3 Depth=1
	s_or_b64 exec, exec, s[28:29]
	v_lshrrev_b32_sdwa v3, s30, v32 dst_sel:DWORD dst_unused:UNUSED_PAD src0_sel:DWORD src1_sel:WORD_0
	v_and_b32_e32 v3, s34, v3
	v_lshlrev_b32_e32 v4, 4, v3
	v_add_u32_e32 v49, v28, v4
	v_and_b32_e32 v4, 1, v3
	v_add_co_u32_e32 v5, vcc, -1, v4
	v_addc_co_u32_e64 v6, s[28:29], 0, -1, vcc
	v_cmp_ne_u32_e32 vcc, 0, v4
	v_lshlrev_b32_e32 v10, 30, v3
	v_xor_b32_e32 v4, vcc_hi, v6
	v_xor_b32_e32 v5, vcc_lo, v5
	v_cmp_gt_i64_e32 vcc, 0, v[9:10]
	v_not_b32_e32 v6, v10
	v_ashrrev_i32_e32 v6, 31, v6
	v_and_b32_e32 v4, exec_hi, v4
	v_xor_b32_e32 v10, vcc_hi, v6
	v_and_b32_e32 v5, exec_lo, v5
	v_xor_b32_e32 v6, vcc_lo, v6
	v_and_b32_e32 v4, v4, v10
	v_lshlrev_b32_e32 v10, 29, v3
	v_and_b32_e32 v5, v5, v6
	v_cmp_gt_i64_e32 vcc, 0, v[9:10]
	v_not_b32_e32 v6, v10
	v_ashrrev_i32_e32 v6, 31, v6
	v_xor_b32_e32 v10, vcc_hi, v6
	v_xor_b32_e32 v6, vcc_lo, v6
	v_and_b32_e32 v4, v4, v10
	v_lshlrev_b32_e32 v10, 28, v3
	v_and_b32_e32 v5, v5, v6
	v_cmp_gt_i64_e32 vcc, 0, v[9:10]
	v_not_b32_e32 v6, v10
	v_ashrrev_i32_e32 v6, 31, v6
	v_xor_b32_e32 v10, vcc_hi, v6
	;; [unrolled: 8-line block ×5, first 2 shown]
	v_and_b32_e32 v4, v4, v10
	v_lshlrev_b32_e32 v10, 24, v3
	v_xor_b32_e32 v6, vcc_lo, v6
	v_cmp_gt_i64_e32 vcc, 0, v[9:10]
	v_not_b32_e32 v3, v10
	v_ashrrev_i32_e32 v3, 31, v3
	v_and_b32_e32 v5, v5, v6
	v_xor_b32_e32 v6, vcc_hi, v3
	v_xor_b32_e32 v3, vcc_lo, v3
	; wave barrier
	ds_read_b32 v48, v49 offset:16
	v_and_b32_e32 v3, v5, v3
	v_and_b32_e32 v4, v4, v6
	v_mbcnt_lo_u32_b32 v5, v3, 0
	v_mbcnt_hi_u32_b32 v51, v4, v5
	v_cmp_ne_u64_e32 vcc, 0, v[3:4]
	v_cmp_eq_u32_e64 s[28:29], 0, v51
	s_and_b64 s[38:39], vcc, s[28:29]
	; wave barrier
	s_and_saveexec_b64 s[28:29], s[38:39]
	s_cbranch_execz .LBB12_13
; %bb.12:                               ;   in Loop: Header=BB12_3 Depth=1
	v_bcnt_u32_b32 v3, v3, 0
	v_bcnt_u32_b32 v3, v4, v3
	s_waitcnt lgkmcnt(0)
	v_add_u32_e32 v3, v48, v3
	ds_write_b32 v49, v3 offset:16
.LBB12_13:                              ;   in Loop: Header=BB12_3 Depth=1
	s_or_b64 exec, exec, s[28:29]
	v_lshrrev_b32_e32 v50, 16, v32
	v_lshrrev_b32_e32 v3, s30, v50
	v_and_b32_e32 v3, s34, v3
	v_lshlrev_b32_e32 v4, 4, v3
	v_add_u32_e32 v53, v28, v4
	v_and_b32_e32 v4, 1, v3
	v_add_co_u32_e32 v5, vcc, -1, v4
	v_addc_co_u32_e64 v6, s[28:29], 0, -1, vcc
	v_cmp_ne_u32_e32 vcc, 0, v4
	v_lshlrev_b32_e32 v10, 30, v3
	v_xor_b32_e32 v4, vcc_hi, v6
	v_xor_b32_e32 v5, vcc_lo, v5
	v_cmp_gt_i64_e32 vcc, 0, v[9:10]
	v_not_b32_e32 v6, v10
	v_ashrrev_i32_e32 v6, 31, v6
	v_and_b32_e32 v4, exec_hi, v4
	v_xor_b32_e32 v10, vcc_hi, v6
	v_and_b32_e32 v5, exec_lo, v5
	v_xor_b32_e32 v6, vcc_lo, v6
	v_and_b32_e32 v4, v4, v10
	v_lshlrev_b32_e32 v10, 29, v3
	v_and_b32_e32 v5, v5, v6
	v_cmp_gt_i64_e32 vcc, 0, v[9:10]
	v_not_b32_e32 v6, v10
	v_ashrrev_i32_e32 v6, 31, v6
	v_xor_b32_e32 v10, vcc_hi, v6
	v_xor_b32_e32 v6, vcc_lo, v6
	v_and_b32_e32 v4, v4, v10
	v_lshlrev_b32_e32 v10, 28, v3
	v_and_b32_e32 v5, v5, v6
	v_cmp_gt_i64_e32 vcc, 0, v[9:10]
	v_not_b32_e32 v6, v10
	v_ashrrev_i32_e32 v6, 31, v6
	v_xor_b32_e32 v10, vcc_hi, v6
	v_xor_b32_e32 v6, vcc_lo, v6
	v_and_b32_e32 v4, v4, v10
	v_lshlrev_b32_e32 v10, 27, v3
	v_and_b32_e32 v5, v5, v6
	v_cmp_gt_i64_e32 vcc, 0, v[9:10]
	v_not_b32_e32 v6, v10
	v_ashrrev_i32_e32 v6, 31, v6
	v_xor_b32_e32 v10, vcc_hi, v6
	v_xor_b32_e32 v6, vcc_lo, v6
	v_and_b32_e32 v4, v4, v10
	v_lshlrev_b32_e32 v10, 26, v3
	v_and_b32_e32 v5, v5, v6
	v_cmp_gt_i64_e32 vcc, 0, v[9:10]
	v_not_b32_e32 v6, v10
	v_ashrrev_i32_e32 v6, 31, v6
	v_xor_b32_e32 v10, vcc_hi, v6
	v_xor_b32_e32 v6, vcc_lo, v6
	v_and_b32_e32 v4, v4, v10
	v_lshlrev_b32_e32 v10, 25, v3
	v_and_b32_e32 v5, v5, v6
	v_cmp_gt_i64_e32 vcc, 0, v[9:10]
	v_not_b32_e32 v6, v10
	v_ashrrev_i32_e32 v6, 31, v6
	v_xor_b32_e32 v10, vcc_hi, v6
	v_and_b32_e32 v4, v4, v10
	v_lshlrev_b32_e32 v10, 24, v3
	v_xor_b32_e32 v6, vcc_lo, v6
	v_cmp_gt_i64_e32 vcc, 0, v[9:10]
	v_not_b32_e32 v3, v10
	v_ashrrev_i32_e32 v3, 31, v3
	v_and_b32_e32 v5, v5, v6
	v_xor_b32_e32 v6, vcc_hi, v3
	v_xor_b32_e32 v3, vcc_lo, v3
	; wave barrier
	ds_read_b32 v52, v53 offset:16
	v_and_b32_e32 v3, v5, v3
	v_and_b32_e32 v4, v4, v6
	v_mbcnt_lo_u32_b32 v5, v3, 0
	v_mbcnt_hi_u32_b32 v54, v4, v5
	v_cmp_ne_u64_e32 vcc, 0, v[3:4]
	v_cmp_eq_u32_e64 s[28:29], 0, v54
	s_and_b64 s[38:39], vcc, s[28:29]
	; wave barrier
	s_and_saveexec_b64 s[28:29], s[38:39]
	s_cbranch_execz .LBB12_15
; %bb.14:                               ;   in Loop: Header=BB12_3 Depth=1
	v_bcnt_u32_b32 v3, v3, 0
	v_bcnt_u32_b32 v3, v4, v3
	s_waitcnt lgkmcnt(0)
	v_add_u32_e32 v3, v52, v3
	ds_write_b32 v53, v3 offset:16
.LBB12_15:                              ;   in Loop: Header=BB12_3 Depth=1
	s_or_b64 exec, exec, s[28:29]
	v_lshrrev_b32_sdwa v3, s30, v30 dst_sel:DWORD dst_unused:UNUSED_PAD src0_sel:DWORD src1_sel:WORD_0
	v_and_b32_e32 v3, s34, v3
	v_lshlrev_b32_e32 v4, 4, v3
	v_add_u32_e32 v56, v28, v4
	v_and_b32_e32 v4, 1, v3
	v_add_co_u32_e32 v5, vcc, -1, v4
	v_addc_co_u32_e64 v6, s[28:29], 0, -1, vcc
	v_cmp_ne_u32_e32 vcc, 0, v4
	v_lshlrev_b32_e32 v10, 30, v3
	v_xor_b32_e32 v4, vcc_hi, v6
	v_xor_b32_e32 v5, vcc_lo, v5
	v_cmp_gt_i64_e32 vcc, 0, v[9:10]
	v_not_b32_e32 v6, v10
	v_ashrrev_i32_e32 v6, 31, v6
	v_and_b32_e32 v4, exec_hi, v4
	v_xor_b32_e32 v10, vcc_hi, v6
	v_and_b32_e32 v5, exec_lo, v5
	v_xor_b32_e32 v6, vcc_lo, v6
	v_and_b32_e32 v4, v4, v10
	v_lshlrev_b32_e32 v10, 29, v3
	v_and_b32_e32 v5, v5, v6
	v_cmp_gt_i64_e32 vcc, 0, v[9:10]
	v_not_b32_e32 v6, v10
	v_ashrrev_i32_e32 v6, 31, v6
	v_xor_b32_e32 v10, vcc_hi, v6
	v_xor_b32_e32 v6, vcc_lo, v6
	v_and_b32_e32 v4, v4, v10
	v_lshlrev_b32_e32 v10, 28, v3
	v_and_b32_e32 v5, v5, v6
	v_cmp_gt_i64_e32 vcc, 0, v[9:10]
	v_not_b32_e32 v6, v10
	v_ashrrev_i32_e32 v6, 31, v6
	v_xor_b32_e32 v10, vcc_hi, v6
	;; [unrolled: 8-line block ×5, first 2 shown]
	v_and_b32_e32 v4, v4, v10
	v_lshlrev_b32_e32 v10, 24, v3
	v_xor_b32_e32 v6, vcc_lo, v6
	v_cmp_gt_i64_e32 vcc, 0, v[9:10]
	v_not_b32_e32 v3, v10
	v_ashrrev_i32_e32 v3, 31, v3
	v_and_b32_e32 v5, v5, v6
	v_xor_b32_e32 v6, vcc_hi, v3
	v_xor_b32_e32 v3, vcc_lo, v3
	; wave barrier
	ds_read_b32 v55, v56 offset:16
	v_and_b32_e32 v3, v5, v3
	v_and_b32_e32 v4, v4, v6
	v_mbcnt_lo_u32_b32 v5, v3, 0
	v_mbcnt_hi_u32_b32 v10, v4, v5
	v_cmp_ne_u64_e32 vcc, 0, v[3:4]
	v_cmp_eq_u32_e64 s[28:29], 0, v10
	s_and_b64 s[34:35], vcc, s[28:29]
	; wave barrier
	s_and_saveexec_b64 s[28:29], s[34:35]
	s_cbranch_execz .LBB12_17
; %bb.16:                               ;   in Loop: Header=BB12_3 Depth=1
	v_bcnt_u32_b32 v3, v3, 0
	v_bcnt_u32_b32 v3, v4, v3
	s_waitcnt lgkmcnt(0)
	v_add_u32_e32 v3, v55, v3
	ds_write_b32 v56, v3 offset:16
.LBB12_17:                              ;   in Loop: Header=BB12_3 Depth=1
	s_or_b64 exec, exec, s[28:29]
	; wave barrier
	s_waitcnt lgkmcnt(0)
	s_barrier
	ds_read2_b64 v[3:6], v16 offset0:2 offset1:3
	s_waitcnt lgkmcnt(0)
	v_add_u32_e32 v57, v4, v3
	v_add3_u32 v6, v57, v5, v6
	s_nop 1
	v_mov_b32_dpp v57, v6 row_shr:1 row_mask:0xf bank_mask:0xf
	v_cndmask_b32_e64 v57, v57, 0, s[10:11]
	v_add_u32_e32 v6, v57, v6
	s_nop 1
	v_mov_b32_dpp v57, v6 row_shr:2 row_mask:0xf bank_mask:0xf
	v_cndmask_b32_e64 v57, 0, v57, s[12:13]
	v_add_u32_e32 v6, v6, v57
	;; [unrolled: 4-line block ×4, first 2 shown]
	s_nop 1
	v_mov_b32_dpp v57, v6 row_bcast:15 row_mask:0xf bank_mask:0xf
	v_cndmask_b32_e64 v57, v57, 0, s[18:19]
	v_add_u32_e32 v6, v6, v57
	s_nop 1
	v_mov_b32_dpp v57, v6 row_bcast:31 row_mask:0xf bank_mask:0xf
	v_cndmask_b32_e64 v57, 0, v57, s[8:9]
	v_add_u32_e32 v6, v6, v57
	s_and_saveexec_b64 s[28:29], s[20:21]
; %bb.18:                               ;   in Loop: Header=BB12_3 Depth=1
	ds_write_b32 v17, v6
; %bb.19:                               ;   in Loop: Header=BB12_3 Depth=1
	s_or_b64 exec, exec, s[28:29]
	s_waitcnt lgkmcnt(0)
	s_barrier
	s_and_saveexec_b64 s[28:29], s[0:1]
	s_cbranch_execz .LBB12_21
; %bb.20:                               ;   in Loop: Header=BB12_3 Depth=1
	ds_read_b32 v57, v29
	s_waitcnt lgkmcnt(0)
	s_nop 0
	v_mov_b32_dpp v58, v57 row_shr:1 row_mask:0xf bank_mask:0xf
	v_cndmask_b32_e64 v58, v58, 0, s[24:25]
	v_add_u32_e32 v57, v58, v57
	s_nop 1
	v_mov_b32_dpp v58, v57 row_shr:2 row_mask:0xf bank_mask:0xf
	v_cndmask_b32_e64 v58, 0, v58, s[26:27]
	v_add_u32_e32 v57, v57, v58
	ds_write_b32 v29, v57
.LBB12_21:                              ;   in Loop: Header=BB12_3 Depth=1
	s_or_b64 exec, exec, s[28:29]
	v_mov_b32_e32 v57, 0
	s_waitcnt lgkmcnt(0)
	s_barrier
	s_and_saveexec_b64 s[28:29], s[2:3]
; %bb.22:                               ;   in Loop: Header=BB12_3 Depth=1
	ds_read_b32 v57, v27
; %bb.23:                               ;   in Loop: Header=BB12_3 Depth=1
	s_or_b64 exec, exec, s[28:29]
	s_waitcnt lgkmcnt(0)
	v_add_u32_e32 v6, v57, v6
	ds_bpermute_b32 v58, v26, v6
	s_add_i32 s30, s30, 8
	v_mov_b32_e32 v6, v34
	s_cmp_ge_u32 s30, s31
	s_mov_b64 s[28:29], -1
	s_waitcnt lgkmcnt(0)
	v_cndmask_b32_e64 v57, v58, v57, s[22:23]
	v_cndmask_b32_e64 v57, v57, 0, s[6:7]
	v_add_u32_e32 v58, v57, v3
	v_add_u32_e32 v3, v58, v4
	;; [unrolled: 1-line block ×3, first 2 shown]
	ds_write2_b64 v16, v[57:58], v[3:4] offset0:2 offset1:3
	s_waitcnt lgkmcnt(0)
	s_barrier
	ds_read_b32 v3, v37 offset:16
	ds_read_b32 v5, v39 offset:16
	;; [unrolled: 1-line block ×7, first 2 shown]
	v_lshlrev_b32_e32 v4, 1, v36
	s_waitcnt lgkmcnt(6)
	v_lshl_add_u32 v4, v3, 1, v4
	v_lshlrev_b32_e32 v3, 1, v40
	v_lshlrev_b32_e32 v36, 1, v38
	s_waitcnt lgkmcnt(5)
	v_lshlrev_b32_e32 v5, 1, v5
	v_add3_u32 v5, v3, v36, v5
	v_lshlrev_b32_e32 v3, 1, v44
	v_lshlrev_b32_e32 v36, 1, v41
	s_waitcnt lgkmcnt(4)
	v_lshlrev_b32_e32 v37, 1, v37
	v_add3_u32 v36, v3, v36, v37
	v_lshlrev_b32_e32 v3, 1, v47
	v_lshlrev_b32_e32 v37, 1, v45
	s_waitcnt lgkmcnt(3)
	v_lshlrev_b32_e32 v38, 1, v39
	v_add3_u32 v37, v3, v37, v38
	v_lshlrev_b32_e32 v3, 1, v51
	v_lshlrev_b32_e32 v38, 1, v48
	s_waitcnt lgkmcnt(2)
	v_lshlrev_b32_e32 v39, 1, v42
	v_add3_u32 v38, v3, v38, v39
	v_lshlrev_b32_e32 v3, 1, v54
	v_lshlrev_b32_e32 v39, 1, v52
	s_waitcnt lgkmcnt(1)
	v_lshlrev_b32_e32 v40, 1, v46
	v_add3_u32 v39, v3, v39, v40
	v_lshlrev_b32_e32 v3, 1, v10
	v_lshlrev_b32_e32 v10, 1, v55
	s_waitcnt lgkmcnt(0)
	v_lshlrev_b32_e32 v40, 1, v49
	v_add3_u32 v10, v3, v10, v40
                                        ; implicit-def: $vgpr3
                                        ; implicit-def: $vgpr41
                                        ; implicit-def: $vgpr40
	s_cbranch_scc1 .LBB12_2
; %bb.24:                               ;   in Loop: Header=BB12_3 Depth=1
	s_barrier
	ds_write_b16 v4, v34
	ds_write_b16 v5, v35
	;; [unrolled: 1-line block ×7, first 2 shown]
	s_waitcnt lgkmcnt(0)
	s_barrier
	ds_read_u16 v34, v31
	ds_read_u16 v40, v31 offset:128
	ds_read_u16 v41, v31 offset:256
	;; [unrolled: 1-line block ×6, first 2 shown]
	s_waitcnt lgkmcnt(5)
	v_perm_b32 v34, v40, v34, s33
	s_waitcnt lgkmcnt(3)
	v_perm_b32 v40, v42, v41, s33
	s_add_i32 s36, s36, -8
	s_waitcnt lgkmcnt(1)
	v_perm_b32 v41, v45, v44, s33
	s_mov_b64 s[28:29], 0
	s_waitcnt lgkmcnt(0)
	s_barrier
	s_branch .LBB12_2
.LBB12_25:
	s_mov_b64 s[10:11], 0
	s_barrier
	ds_write_b16 v4, v6
	ds_write_b16 v5, v35
	ds_write_b16 v36, v33
	ds_write_b16 v37, v43
	ds_write_b16 v38, v32
	ds_write_b16 v39, v50
	ds_write_b16 v10, v30
	s_waitcnt lgkmcnt(0)
	s_barrier
.LBB12_26:
	s_and_b64 vcc, exec, s[10:11]
	s_cbranch_vccz .LBB12_68
; %bb.27:
	; wave barrier
	ds_read_u16 v27, v25
	ds_read_u16 v26, v25 offset:128
	ds_read_u16 v14, v25 offset:256
	;; [unrolled: 1-line block ×6, first 2 shown]
	s_waitcnt lgkmcnt(0)
	s_barrier
	; wave barrier
	s_barrier
	s_load_dword s0, s[4:5], 0x1c
	s_mov_b32 s2, 0xffff
	v_and_b32_e32 v11, 1, v27
	s_waitcnt lgkmcnt(0)
	s_lshr_b32 s1, s0, 16
	s_and_b32 s0, s0, 0xffff
	v_mad_u32_u24 v1, v2, s1, v1
	v_mad_u64_u32 v[1:2], s[0:1], v1, s0, v[0:1]
	s_mov_b32 s0, 0
	s_mov_b32 s1, s0
	v_lshrrev_b32_e32 v1, 4, v1
	s_mov_b32 s4, s0
	v_and_b32_e32 v6, 0xffffffc, v1
	s_mov_b32 s5, s0
	v_mov_b32_e32 v2, s1
	v_mov_b32_e32 v3, s4
	v_mov_b32_e32 v1, s0
	v_mov_b32_e32 v4, s5
	ds_write2_b64 v16, v[1:2], v[3:4] offset0:2 offset1:3
	v_and_b32_sdwa v3, s2, v27 dst_sel:DWORD dst_unused:UNUSED_PAD src0_sel:DWORD src1_sel:BYTE_0
	v_and_b32_e32 v2, 1, v3
	v_add_co_u32_e32 v2, vcc, -1, v2
	v_addc_co_u32_e64 v9, s[0:1], 0, -1, vcc
	v_cmp_ne_u32_e32 vcc, 0, v11
	v_xor_b32_e32 v2, vcc_lo, v2
	v_mov_b32_e32 v1, 0
	v_and_b32_e32 v11, exec_lo, v2
	v_lshlrev_b32_e32 v2, 30, v3
	v_xor_b32_e32 v9, vcc_hi, v9
	v_cmp_gt_i64_e32 vcc, 0, v[1:2]
	v_not_b32_e32 v2, v2
	v_ashrrev_i32_e32 v2, 31, v2
	v_xor_b32_e32 v25, vcc_hi, v2
	v_xor_b32_e32 v2, vcc_lo, v2
	v_and_b32_e32 v11, v11, v2
	v_lshlrev_b32_e32 v2, 29, v3
	v_cmp_gt_i64_e32 vcc, 0, v[1:2]
	v_not_b32_e32 v2, v2
	v_and_b32_e32 v9, exec_hi, v9
	v_ashrrev_i32_e32 v2, 31, v2
	v_and_b32_e32 v9, v9, v25
	v_xor_b32_e32 v25, vcc_hi, v2
	v_xor_b32_e32 v2, vcc_lo, v2
	v_and_b32_e32 v11, v11, v2
	v_lshlrev_b32_e32 v2, 28, v3
	v_cmp_gt_i64_e32 vcc, 0, v[1:2]
	v_not_b32_e32 v2, v2
	v_ashrrev_i32_e32 v2, 31, v2
	v_and_b32_e32 v9, v9, v25
	v_xor_b32_e32 v25, vcc_hi, v2
	v_xor_b32_e32 v2, vcc_lo, v2
	v_and_b32_e32 v11, v11, v2
	v_lshlrev_b32_e32 v2, 27, v3
	v_cmp_gt_i64_e32 vcc, 0, v[1:2]
	v_not_b32_e32 v2, v2
	;; [unrolled: 8-line block ×4, first 2 shown]
	v_ashrrev_i32_e32 v2, 31, v2
	v_lshlrev_b32_e32 v4, 4, v3
	v_and_b32_e32 v9, v9, v25
	v_xor_b32_e32 v3, vcc_hi, v2
	v_xor_b32_e32 v2, vcc_lo, v2
	v_and_b32_e32 v3, v9, v3
	v_and_b32_e32 v9, v11, v2
	v_lshlrev_b32_e32 v2, 24, v27
	v_cmp_gt_i64_e32 vcc, 0, v[1:2]
	v_not_b32_e32 v2, v2
	v_ashrrev_i32_e32 v2, 31, v2
	v_xor_b32_e32 v11, vcc_hi, v2
	v_xor_b32_e32 v2, vcc_lo, v2
	v_and_b32_e32 v2, v9, v2
	v_and_b32_e32 v3, v3, v11
	v_mbcnt_lo_u32_b32 v9, v2, 0
	v_mbcnt_hi_u32_b32 v25, v3, v9
	v_cmp_ne_u64_e32 vcc, 0, v[2:3]
	v_cmp_eq_u32_e64 s[0:1], 0, v25
	s_and_b64 s[4:5], vcc, s[0:1]
	v_add_u32_e32 v28, v6, v4
	s_waitcnt lgkmcnt(0)
	s_barrier
	; wave barrier
	s_and_saveexec_b64 s[0:1], s[4:5]
; %bb.28:
	v_bcnt_u32_b32 v2, v2, 0
	v_bcnt_u32_b32 v2, v3, v2
	ds_write_b32 v28, v2 offset:16
; %bb.29:
	s_or_b64 exec, exec, s[0:1]
	v_and_b32_sdwa v3, s2, v26 dst_sel:DWORD dst_unused:UNUSED_PAD src0_sel:DWORD src1_sel:BYTE_0
	v_lshlrev_b32_e32 v2, 4, v3
	v_add_u32_e32 v30, v6, v2
	v_and_b32_e32 v2, 1, v3
	v_add_co_u32_e32 v2, vcc, -1, v2
	v_and_b32_e32 v9, 1, v26
	v_addc_co_u32_e64 v4, s[0:1], 0, -1, vcc
	v_cmp_ne_u32_e32 vcc, 0, v9
	v_xor_b32_e32 v2, vcc_lo, v2
	v_and_b32_e32 v9, exec_lo, v2
	v_lshlrev_b32_e32 v2, 30, v3
	v_xor_b32_e32 v4, vcc_hi, v4
	v_cmp_gt_i64_e32 vcc, 0, v[1:2]
	v_not_b32_e32 v2, v2
	v_ashrrev_i32_e32 v2, 31, v2
	v_xor_b32_e32 v11, vcc_hi, v2
	v_xor_b32_e32 v2, vcc_lo, v2
	v_and_b32_e32 v9, v9, v2
	v_lshlrev_b32_e32 v2, 29, v3
	v_cmp_gt_i64_e32 vcc, 0, v[1:2]
	v_not_b32_e32 v2, v2
	v_and_b32_e32 v4, exec_hi, v4
	v_ashrrev_i32_e32 v2, 31, v2
	v_and_b32_e32 v4, v4, v11
	v_xor_b32_e32 v11, vcc_hi, v2
	v_xor_b32_e32 v2, vcc_lo, v2
	v_and_b32_e32 v9, v9, v2
	v_lshlrev_b32_e32 v2, 28, v3
	v_cmp_gt_i64_e32 vcc, 0, v[1:2]
	v_not_b32_e32 v2, v2
	v_ashrrev_i32_e32 v2, 31, v2
	v_and_b32_e32 v4, v4, v11
	v_xor_b32_e32 v11, vcc_hi, v2
	v_xor_b32_e32 v2, vcc_lo, v2
	v_and_b32_e32 v9, v9, v2
	v_lshlrev_b32_e32 v2, 27, v3
	v_cmp_gt_i64_e32 vcc, 0, v[1:2]
	v_not_b32_e32 v2, v2
	;; [unrolled: 8-line block ×4, first 2 shown]
	v_ashrrev_i32_e32 v2, 31, v2
	v_and_b32_e32 v4, v4, v11
	v_xor_b32_e32 v3, vcc_hi, v2
	v_xor_b32_e32 v2, vcc_lo, v2
	v_and_b32_e32 v3, v4, v3
	v_and_b32_e32 v4, v9, v2
	v_lshlrev_b32_e32 v2, 24, v26
	v_cmp_gt_i64_e32 vcc, 0, v[1:2]
	v_not_b32_e32 v1, v2
	v_ashrrev_i32_e32 v1, 31, v1
	v_xor_b32_e32 v2, vcc_hi, v1
	v_xor_b32_e32 v1, vcc_lo, v1
	; wave barrier
	ds_read_b32 v29, v30 offset:16
	v_and_b32_e32 v1, v4, v1
	v_and_b32_e32 v2, v3, v2
	v_mbcnt_lo_u32_b32 v3, v1, 0
	v_mbcnt_hi_u32_b32 v31, v2, v3
	v_cmp_ne_u64_e32 vcc, 0, v[1:2]
	v_cmp_eq_u32_e64 s[0:1], 0, v31
	s_and_b64 s[2:3], vcc, s[0:1]
	; wave barrier
	s_and_saveexec_b64 s[0:1], s[2:3]
	s_cbranch_execz .LBB12_31
; %bb.30:
	v_bcnt_u32_b32 v1, v1, 0
	v_bcnt_u32_b32 v1, v2, v1
	s_waitcnt lgkmcnt(0)
	v_add_u32_e32 v1, v29, v1
	ds_write_b32 v30, v1 offset:16
.LBB12_31:
	s_or_b64 exec, exec, s[0:1]
	s_mov_b32 s2, 0xffff
	v_and_b32_sdwa v3, s2, v14 dst_sel:DWORD dst_unused:UNUSED_PAD src0_sel:DWORD src1_sel:BYTE_0
	v_and_b32_e32 v2, 1, v3
	v_add_co_u32_e32 v2, vcc, -1, v2
	v_and_b32_e32 v9, 1, v14
	v_addc_co_u32_e64 v4, s[0:1], 0, -1, vcc
	v_cmp_ne_u32_e32 vcc, 0, v9
	v_lshlrev_b32_e32 v1, 4, v3
	v_xor_b32_e32 v2, vcc_lo, v2
	v_add_u32_e32 v33, v6, v1
	v_mov_b32_e32 v1, 0
	v_and_b32_e32 v9, exec_lo, v2
	v_lshlrev_b32_e32 v2, 30, v3
	v_xor_b32_e32 v4, vcc_hi, v4
	v_cmp_gt_i64_e32 vcc, 0, v[1:2]
	v_not_b32_e32 v2, v2
	v_ashrrev_i32_e32 v2, 31, v2
	v_xor_b32_e32 v11, vcc_hi, v2
	v_xor_b32_e32 v2, vcc_lo, v2
	v_and_b32_e32 v9, v9, v2
	v_lshlrev_b32_e32 v2, 29, v3
	v_cmp_gt_i64_e32 vcc, 0, v[1:2]
	v_not_b32_e32 v2, v2
	v_and_b32_e32 v4, exec_hi, v4
	v_ashrrev_i32_e32 v2, 31, v2
	v_and_b32_e32 v4, v4, v11
	v_xor_b32_e32 v11, vcc_hi, v2
	v_xor_b32_e32 v2, vcc_lo, v2
	v_and_b32_e32 v9, v9, v2
	v_lshlrev_b32_e32 v2, 28, v3
	v_cmp_gt_i64_e32 vcc, 0, v[1:2]
	v_not_b32_e32 v2, v2
	v_ashrrev_i32_e32 v2, 31, v2
	v_and_b32_e32 v4, v4, v11
	v_xor_b32_e32 v11, vcc_hi, v2
	v_xor_b32_e32 v2, vcc_lo, v2
	v_and_b32_e32 v9, v9, v2
	v_lshlrev_b32_e32 v2, 27, v3
	v_cmp_gt_i64_e32 vcc, 0, v[1:2]
	v_not_b32_e32 v2, v2
	;; [unrolled: 8-line block ×4, first 2 shown]
	v_ashrrev_i32_e32 v2, 31, v2
	v_and_b32_e32 v4, v4, v11
	v_xor_b32_e32 v3, vcc_hi, v2
	v_xor_b32_e32 v2, vcc_lo, v2
	v_and_b32_e32 v3, v4, v3
	v_and_b32_e32 v4, v9, v2
	v_lshlrev_b32_e32 v2, 24, v14
	v_cmp_gt_i64_e32 vcc, 0, v[1:2]
	v_not_b32_e32 v2, v2
	v_ashrrev_i32_e32 v2, 31, v2
	v_xor_b32_e32 v9, vcc_hi, v2
	v_xor_b32_e32 v2, vcc_lo, v2
	; wave barrier
	ds_read_b32 v32, v33 offset:16
	v_and_b32_e32 v2, v4, v2
	v_and_b32_e32 v3, v3, v9
	v_mbcnt_lo_u32_b32 v4, v2, 0
	v_mbcnt_hi_u32_b32 v34, v3, v4
	v_cmp_ne_u64_e32 vcc, 0, v[2:3]
	v_cmp_eq_u32_e64 s[0:1], 0, v34
	s_and_b64 s[4:5], vcc, s[0:1]
	; wave barrier
	s_and_saveexec_b64 s[0:1], s[4:5]
	s_cbranch_execz .LBB12_33
; %bb.32:
	v_bcnt_u32_b32 v2, v2, 0
	v_bcnt_u32_b32 v2, v3, v2
	s_waitcnt lgkmcnt(0)
	v_add_u32_e32 v2, v32, v2
	ds_write_b32 v33, v2 offset:16
.LBB12_33:
	s_or_b64 exec, exec, s[0:1]
	v_and_b32_sdwa v3, s2, v13 dst_sel:DWORD dst_unused:UNUSED_PAD src0_sel:DWORD src1_sel:BYTE_0
	v_lshlrev_b32_e32 v2, 4, v3
	v_add_u32_e32 v36, v6, v2
	v_and_b32_e32 v2, 1, v3
	v_add_co_u32_e32 v2, vcc, -1, v2
	v_and_b32_e32 v9, 1, v13
	v_addc_co_u32_e64 v4, s[0:1], 0, -1, vcc
	v_cmp_ne_u32_e32 vcc, 0, v9
	v_xor_b32_e32 v2, vcc_lo, v2
	v_and_b32_e32 v9, exec_lo, v2
	v_lshlrev_b32_e32 v2, 30, v3
	v_xor_b32_e32 v4, vcc_hi, v4
	v_cmp_gt_i64_e32 vcc, 0, v[1:2]
	v_not_b32_e32 v2, v2
	v_ashrrev_i32_e32 v2, 31, v2
	v_xor_b32_e32 v11, vcc_hi, v2
	v_xor_b32_e32 v2, vcc_lo, v2
	v_and_b32_e32 v9, v9, v2
	v_lshlrev_b32_e32 v2, 29, v3
	v_cmp_gt_i64_e32 vcc, 0, v[1:2]
	v_not_b32_e32 v2, v2
	v_and_b32_e32 v4, exec_hi, v4
	v_ashrrev_i32_e32 v2, 31, v2
	v_and_b32_e32 v4, v4, v11
	v_xor_b32_e32 v11, vcc_hi, v2
	v_xor_b32_e32 v2, vcc_lo, v2
	v_and_b32_e32 v9, v9, v2
	v_lshlrev_b32_e32 v2, 28, v3
	v_cmp_gt_i64_e32 vcc, 0, v[1:2]
	v_not_b32_e32 v2, v2
	v_ashrrev_i32_e32 v2, 31, v2
	v_and_b32_e32 v4, v4, v11
	v_xor_b32_e32 v11, vcc_hi, v2
	v_xor_b32_e32 v2, vcc_lo, v2
	v_and_b32_e32 v9, v9, v2
	v_lshlrev_b32_e32 v2, 27, v3
	v_cmp_gt_i64_e32 vcc, 0, v[1:2]
	v_not_b32_e32 v2, v2
	;; [unrolled: 8-line block ×4, first 2 shown]
	v_ashrrev_i32_e32 v2, 31, v2
	v_and_b32_e32 v4, v4, v11
	v_xor_b32_e32 v3, vcc_hi, v2
	v_xor_b32_e32 v2, vcc_lo, v2
	v_and_b32_e32 v3, v4, v3
	v_and_b32_e32 v4, v9, v2
	v_lshlrev_b32_e32 v2, 24, v13
	v_cmp_gt_i64_e32 vcc, 0, v[1:2]
	v_not_b32_e32 v1, v2
	v_ashrrev_i32_e32 v1, 31, v1
	v_xor_b32_e32 v2, vcc_hi, v1
	v_xor_b32_e32 v1, vcc_lo, v1
	; wave barrier
	ds_read_b32 v35, v36 offset:16
	v_and_b32_e32 v1, v4, v1
	v_and_b32_e32 v2, v3, v2
	v_mbcnt_lo_u32_b32 v3, v1, 0
	v_mbcnt_hi_u32_b32 v37, v2, v3
	v_cmp_ne_u64_e32 vcc, 0, v[1:2]
	v_cmp_eq_u32_e64 s[0:1], 0, v37
	s_and_b64 s[2:3], vcc, s[0:1]
	; wave barrier
	s_and_saveexec_b64 s[0:1], s[2:3]
	s_cbranch_execz .LBB12_35
; %bb.34:
	v_bcnt_u32_b32 v1, v1, 0
	v_bcnt_u32_b32 v1, v2, v1
	s_waitcnt lgkmcnt(0)
	v_add_u32_e32 v1, v35, v1
	ds_write_b32 v36, v1 offset:16
.LBB12_35:
	s_or_b64 exec, exec, s[0:1]
	s_mov_b32 s2, 0xffff
	v_and_b32_sdwa v3, s2, v12 dst_sel:DWORD dst_unused:UNUSED_PAD src0_sel:DWORD src1_sel:BYTE_0
	v_and_b32_e32 v2, 1, v3
	v_add_co_u32_e32 v2, vcc, -1, v2
	v_and_b32_e32 v9, 1, v12
	v_addc_co_u32_e64 v4, s[0:1], 0, -1, vcc
	v_cmp_ne_u32_e32 vcc, 0, v9
	v_lshlrev_b32_e32 v1, 4, v3
	v_xor_b32_e32 v2, vcc_lo, v2
	v_add_u32_e32 v39, v6, v1
	v_mov_b32_e32 v1, 0
	v_and_b32_e32 v9, exec_lo, v2
	v_lshlrev_b32_e32 v2, 30, v3
	v_xor_b32_e32 v4, vcc_hi, v4
	v_cmp_gt_i64_e32 vcc, 0, v[1:2]
	v_not_b32_e32 v2, v2
	v_ashrrev_i32_e32 v2, 31, v2
	v_xor_b32_e32 v11, vcc_hi, v2
	v_xor_b32_e32 v2, vcc_lo, v2
	v_and_b32_e32 v9, v9, v2
	v_lshlrev_b32_e32 v2, 29, v3
	v_cmp_gt_i64_e32 vcc, 0, v[1:2]
	v_not_b32_e32 v2, v2
	v_and_b32_e32 v4, exec_hi, v4
	v_ashrrev_i32_e32 v2, 31, v2
	v_and_b32_e32 v4, v4, v11
	v_xor_b32_e32 v11, vcc_hi, v2
	v_xor_b32_e32 v2, vcc_lo, v2
	v_and_b32_e32 v9, v9, v2
	v_lshlrev_b32_e32 v2, 28, v3
	v_cmp_gt_i64_e32 vcc, 0, v[1:2]
	v_not_b32_e32 v2, v2
	v_ashrrev_i32_e32 v2, 31, v2
	v_and_b32_e32 v4, v4, v11
	v_xor_b32_e32 v11, vcc_hi, v2
	v_xor_b32_e32 v2, vcc_lo, v2
	v_and_b32_e32 v9, v9, v2
	v_lshlrev_b32_e32 v2, 27, v3
	v_cmp_gt_i64_e32 vcc, 0, v[1:2]
	v_not_b32_e32 v2, v2
	;; [unrolled: 8-line block ×4, first 2 shown]
	v_ashrrev_i32_e32 v2, 31, v2
	v_and_b32_e32 v4, v4, v11
	v_xor_b32_e32 v3, vcc_hi, v2
	v_xor_b32_e32 v2, vcc_lo, v2
	v_and_b32_e32 v3, v4, v3
	v_and_b32_e32 v4, v9, v2
	v_lshlrev_b32_e32 v2, 24, v12
	v_cmp_gt_i64_e32 vcc, 0, v[1:2]
	v_not_b32_e32 v2, v2
	v_ashrrev_i32_e32 v2, 31, v2
	v_xor_b32_e32 v9, vcc_hi, v2
	v_xor_b32_e32 v2, vcc_lo, v2
	; wave barrier
	ds_read_b32 v38, v39 offset:16
	v_and_b32_e32 v2, v4, v2
	v_and_b32_e32 v3, v3, v9
	v_mbcnt_lo_u32_b32 v4, v2, 0
	v_mbcnt_hi_u32_b32 v40, v3, v4
	v_cmp_ne_u64_e32 vcc, 0, v[2:3]
	v_cmp_eq_u32_e64 s[0:1], 0, v40
	s_and_b64 s[4:5], vcc, s[0:1]
	; wave barrier
	s_and_saveexec_b64 s[0:1], s[4:5]
	s_cbranch_execz .LBB12_37
; %bb.36:
	v_bcnt_u32_b32 v2, v2, 0
	v_bcnt_u32_b32 v2, v3, v2
	s_waitcnt lgkmcnt(0)
	v_add_u32_e32 v2, v38, v2
	ds_write_b32 v39, v2 offset:16
.LBB12_37:
	s_or_b64 exec, exec, s[0:1]
	v_and_b32_sdwa v3, s2, v10 dst_sel:DWORD dst_unused:UNUSED_PAD src0_sel:DWORD src1_sel:BYTE_0
	v_lshlrev_b32_e32 v2, 4, v3
	v_add_u32_e32 v42, v6, v2
	v_and_b32_e32 v2, 1, v3
	v_add_co_u32_e32 v2, vcc, -1, v2
	v_and_b32_e32 v9, 1, v10
	v_addc_co_u32_e64 v4, s[0:1], 0, -1, vcc
	v_cmp_ne_u32_e32 vcc, 0, v9
	v_xor_b32_e32 v2, vcc_lo, v2
	v_and_b32_e32 v9, exec_lo, v2
	v_lshlrev_b32_e32 v2, 30, v3
	v_xor_b32_e32 v4, vcc_hi, v4
	v_cmp_gt_i64_e32 vcc, 0, v[1:2]
	v_not_b32_e32 v2, v2
	v_ashrrev_i32_e32 v2, 31, v2
	v_xor_b32_e32 v11, vcc_hi, v2
	v_xor_b32_e32 v2, vcc_lo, v2
	v_and_b32_e32 v9, v9, v2
	v_lshlrev_b32_e32 v2, 29, v3
	v_cmp_gt_i64_e32 vcc, 0, v[1:2]
	v_not_b32_e32 v2, v2
	v_and_b32_e32 v4, exec_hi, v4
	v_ashrrev_i32_e32 v2, 31, v2
	v_and_b32_e32 v4, v4, v11
	v_xor_b32_e32 v11, vcc_hi, v2
	v_xor_b32_e32 v2, vcc_lo, v2
	v_and_b32_e32 v9, v9, v2
	v_lshlrev_b32_e32 v2, 28, v3
	v_cmp_gt_i64_e32 vcc, 0, v[1:2]
	v_not_b32_e32 v2, v2
	v_ashrrev_i32_e32 v2, 31, v2
	v_and_b32_e32 v4, v4, v11
	v_xor_b32_e32 v11, vcc_hi, v2
	v_xor_b32_e32 v2, vcc_lo, v2
	v_and_b32_e32 v9, v9, v2
	v_lshlrev_b32_e32 v2, 27, v3
	v_cmp_gt_i64_e32 vcc, 0, v[1:2]
	v_not_b32_e32 v2, v2
	;; [unrolled: 8-line block ×4, first 2 shown]
	v_ashrrev_i32_e32 v2, 31, v2
	v_and_b32_e32 v4, v4, v11
	v_xor_b32_e32 v3, vcc_hi, v2
	v_xor_b32_e32 v2, vcc_lo, v2
	v_and_b32_e32 v3, v4, v3
	v_and_b32_e32 v4, v9, v2
	v_lshlrev_b32_e32 v2, 24, v10
	v_cmp_gt_i64_e32 vcc, 0, v[1:2]
	v_not_b32_e32 v1, v2
	v_ashrrev_i32_e32 v1, 31, v1
	v_xor_b32_e32 v2, vcc_hi, v1
	v_xor_b32_e32 v1, vcc_lo, v1
	; wave barrier
	ds_read_b32 v41, v42 offset:16
	v_and_b32_e32 v1, v4, v1
	v_and_b32_e32 v2, v3, v2
	v_mbcnt_lo_u32_b32 v3, v1, 0
	v_mbcnt_hi_u32_b32 v43, v2, v3
	v_cmp_ne_u64_e32 vcc, 0, v[1:2]
	v_cmp_eq_u32_e64 s[0:1], 0, v43
	s_and_b64 s[2:3], vcc, s[0:1]
	; wave barrier
	s_and_saveexec_b64 s[0:1], s[2:3]
	s_cbranch_execz .LBB12_39
; %bb.38:
	v_bcnt_u32_b32 v1, v1, 0
	v_bcnt_u32_b32 v1, v2, v1
	s_waitcnt lgkmcnt(0)
	v_add_u32_e32 v1, v41, v1
	ds_write_b32 v42, v1 offset:16
.LBB12_39:
	s_or_b64 exec, exec, s[0:1]
	s_mov_b32 s0, 0xffff
	v_and_b32_sdwa v3, s0, v5 dst_sel:DWORD dst_unused:UNUSED_PAD src0_sel:DWORD src1_sel:BYTE_0
	v_and_b32_e32 v2, 1, v3
	v_add_co_u32_e32 v2, vcc, -1, v2
	v_and_b32_e32 v9, 1, v5
	v_addc_co_u32_e64 v4, s[0:1], 0, -1, vcc
	v_cmp_ne_u32_e32 vcc, 0, v9
	v_lshlrev_b32_e32 v1, 4, v3
	v_xor_b32_e32 v2, vcc_lo, v2
	v_add_u32_e32 v45, v6, v1
	v_mov_b32_e32 v1, 0
	v_and_b32_e32 v9, exec_lo, v2
	v_lshlrev_b32_e32 v2, 30, v3
	v_xor_b32_e32 v4, vcc_hi, v4
	v_cmp_gt_i64_e32 vcc, 0, v[1:2]
	v_not_b32_e32 v2, v2
	v_ashrrev_i32_e32 v2, 31, v2
	v_xor_b32_e32 v46, vcc_hi, v2
	v_xor_b32_e32 v2, vcc_lo, v2
	v_and_b32_e32 v9, v9, v2
	v_lshlrev_b32_e32 v2, 29, v3
	v_cmp_gt_i64_e32 vcc, 0, v[1:2]
	v_not_b32_e32 v2, v2
	v_and_b32_e32 v4, exec_hi, v4
	v_ashrrev_i32_e32 v2, 31, v2
	v_and_b32_e32 v4, v4, v46
	v_xor_b32_e32 v46, vcc_hi, v2
	v_xor_b32_e32 v2, vcc_lo, v2
	v_and_b32_e32 v9, v9, v2
	v_lshlrev_b32_e32 v2, 28, v3
	v_cmp_gt_i64_e32 vcc, 0, v[1:2]
	v_not_b32_e32 v2, v2
	v_ashrrev_i32_e32 v2, 31, v2
	v_and_b32_e32 v4, v4, v46
	v_xor_b32_e32 v46, vcc_hi, v2
	v_xor_b32_e32 v2, vcc_lo, v2
	v_and_b32_e32 v9, v9, v2
	v_lshlrev_b32_e32 v2, 27, v3
	v_cmp_gt_i64_e32 vcc, 0, v[1:2]
	v_not_b32_e32 v2, v2
	;; [unrolled: 8-line block ×4, first 2 shown]
	v_ashrrev_i32_e32 v2, 31, v2
	v_and_b32_e32 v4, v4, v46
	v_xor_b32_e32 v3, vcc_hi, v2
	v_xor_b32_e32 v2, vcc_lo, v2
	v_and_b32_e32 v3, v4, v3
	v_and_b32_e32 v4, v9, v2
	v_lshlrev_b32_e32 v2, 24, v5
	v_cmp_gt_i64_e32 vcc, 0, v[1:2]
	v_not_b32_e32 v1, v2
	v_ashrrev_i32_e32 v1, 31, v1
	v_xor_b32_e32 v2, vcc_hi, v1
	v_xor_b32_e32 v1, vcc_lo, v1
	; wave barrier
	ds_read_b32 v44, v45 offset:16
	v_and_b32_e32 v1, v4, v1
	v_and_b32_e32 v2, v3, v2
	v_mbcnt_lo_u32_b32 v3, v1, 0
	v_mbcnt_hi_u32_b32 v46, v2, v3
	v_cmp_ne_u64_e32 vcc, 0, v[1:2]
	v_cmp_eq_u32_e64 s[0:1], 0, v46
	v_and_b32_e32 v11, 0xc0, v0
	s_and_b64 s[2:3], vcc, s[0:1]
	; wave barrier
	s_and_saveexec_b64 s[0:1], s[2:3]
	s_cbranch_execz .LBB12_41
; %bb.40:
	v_bcnt_u32_b32 v1, v1, 0
	v_bcnt_u32_b32 v1, v2, v1
	s_waitcnt lgkmcnt(0)
	v_add_u32_e32 v1, v44, v1
	ds_write_b32 v45, v1 offset:16
.LBB12_41:
	s_or_b64 exec, exec, s[0:1]
	; wave barrier
	s_waitcnt lgkmcnt(0)
	s_barrier
	ds_read2_b64 v[1:4], v16 offset0:2 offset1:3
	v_cmp_eq_u32_e64 s[0:1], 0, v24
	v_or_b32_e32 v24, 63, v11
	v_cmp_eq_u32_e32 vcc, v0, v24
	v_cmp_eq_u32_e64 s[8:9], 0, v23
	s_waitcnt lgkmcnt(0)
	v_add_u32_e32 v24, v2, v1
	v_add3_u32 v4, v24, v3, v4
	v_cmp_lt_u32_e64 s[10:11], 1, v23
	v_cmp_lt_u32_e64 s[14:15], 3, v23
	v_mov_b32_dpp v24, v4 row_shr:1 row_mask:0xf bank_mask:0xf
	v_cndmask_b32_e64 v24, v24, 0, s[8:9]
	v_add_u32_e32 v4, v24, v4
	v_cmp_lt_u32_e64 s[16:17], 7, v23
	v_bfe_i32 v9, v19, 4, 1
	v_mov_b32_dpp v24, v4 row_shr:2 row_mask:0xf bank_mask:0xf
	v_cndmask_b32_e64 v24, 0, v24, s[10:11]
	v_add_u32_e32 v4, v4, v24
	v_cmp_lt_u32_e64 s[18:19], 31, v19
	s_nop 0
	v_mov_b32_dpp v24, v4 row_shr:4 row_mask:0xf bank_mask:0xf
	v_cndmask_b32_e64 v24, 0, v24, s[14:15]
	v_add_u32_e32 v4, v4, v24
	s_nop 1
	v_mov_b32_dpp v24, v4 row_shr:8 row_mask:0xf bank_mask:0xf
	v_cndmask_b32_e64 v23, 0, v24, s[16:17]
	v_add_u32_e32 v4, v4, v23
	s_nop 1
	v_mov_b32_dpp v23, v4 row_bcast:15 row_mask:0xf bank_mask:0xf
	v_and_b32_e32 v9, v9, v23
	v_add_u32_e32 v4, v4, v9
	s_nop 1
	v_mov_b32_dpp v9, v4 row_bcast:31 row_mask:0xf bank_mask:0xf
	v_cndmask_b32_e64 v9, 0, v9, s[18:19]
	v_add_u32_e32 v23, v4, v9
	s_and_saveexec_b64 s[2:3], vcc
; %bb.42:
	ds_write_b32 v17, v23
; %bb.43:
	s_or_b64 exec, exec, s[2:3]
	v_cmp_gt_u32_e64 s[12:13], 4, v0
	v_cmp_eq_u32_e64 s[6:7], 0, v22
	v_cmp_lt_u32_e64 s[4:5], 1, v22
	v_add_u32_e32 v9, v16, v21
	s_waitcnt lgkmcnt(0)
	s_barrier
	s_and_saveexec_b64 s[2:3], s[12:13]
	s_cbranch_execz .LBB12_45
; %bb.44:
	ds_read_b32 v4, v9
	s_waitcnt lgkmcnt(0)
	s_nop 0
	v_mov_b32_dpp v21, v4 row_shr:1 row_mask:0xf bank_mask:0xf
	v_cndmask_b32_e64 v21, v21, 0, s[6:7]
	v_add_u32_e32 v4, v21, v4
	s_nop 1
	v_mov_b32_dpp v21, v4 row_shr:2 row_mask:0xf bank_mask:0xf
	v_cndmask_b32_e64 v21, 0, v21, s[4:5]
	v_add_u32_e32 v4, v4, v21
	ds_write_b32 v9, v4
.LBB12_45:
	s_or_b64 exec, exec, s[2:3]
	v_subrev_co_u32_e64 v22, s[2:3], 1, v19
	v_mul_u32_u24_e32 v21, 14, v11
	v_cmp_lt_u32_e64 s[20:21], 63, v0
	v_add_u32_e32 v11, -4, v17
	v_mov_b32_e32 v4, 0
	v_mov_b32_e32 v24, 0
	s_waitcnt lgkmcnt(0)
	s_barrier
	s_and_saveexec_b64 s[22:23], s[20:21]
; %bb.46:
	ds_read_b32 v24, v11
; %bb.47:
	s_or_b64 exec, exec, s[22:23]
	v_cmp_lt_i32_e64 s[22:23], v22, v20
	v_cndmask_b32_e64 v19, v22, v19, s[22:23]
	v_lshlrev_b32_e32 v19, 2, v19
	s_waitcnt lgkmcnt(0)
	v_add_u32_e32 v20, v24, v23
	ds_bpermute_b32 v20, v19, v20
	v_cmp_eq_u32_e64 s[22:23], 0, v0
	s_mov_b32 s24, 0
	s_mov_b32 s26, s24
	;; [unrolled: 1-line block ×3, first 2 shown]
	s_waitcnt lgkmcnt(0)
	v_cndmask_b32_e64 v20, v20, v24, s[2:3]
	v_cndmask_b32_e64 v0, v20, 0, s[22:23]
	v_add_u32_e32 v1, v0, v1
	v_add_u32_e32 v2, v1, v2
	;; [unrolled: 1-line block ×3, first 2 shown]
	ds_write2_b64 v16, v[0:1], v[2:3] offset0:2 offset1:3
	s_waitcnt lgkmcnt(0)
	s_barrier
	ds_read_b32 v0, v28 offset:16
	ds_read_b32 v1, v30 offset:16
	;; [unrolled: 1-line block ×7, first 2 shown]
	v_lshlrev_b32_e32 v24, 1, v25
	s_waitcnt lgkmcnt(6)
	v_lshl_add_u32 v0, v0, 1, v24
	s_waitcnt lgkmcnt(0)
	s_barrier
	ds_write_b16 v0, v27
	v_lshlrev_b32_e32 v0, 1, v31
	v_lshlrev_b32_e32 v24, 1, v29
	v_lshlrev_b32_e32 v1, 1, v1
	v_add3_u32 v0, v0, v24, v1
	ds_write_b16 v0, v26
	v_lshlrev_b32_e32 v0, 1, v34
	v_lshlrev_b32_e32 v1, 1, v32
	v_lshlrev_b32_e32 v2, 1, v2
	v_add3_u32 v0, v0, v1, v2
	;; [unrolled: 5-line block ×6, first 2 shown]
	ds_write_b16 v0, v5
	v_add_u32_e32 v0, v18, v21
	s_waitcnt lgkmcnt(0)
	s_barrier
	ds_read_u16 v21, v0
	ds_read_u16 v20, v0 offset:128
	ds_read_u16 v18, v0 offset:256
	;; [unrolled: 1-line block ×6, first 2 shown]
	s_mov_b32 s27, s24
	v_mov_b32_e32 v0, s24
	v_mov_b32_e32 v2, s26
	;; [unrolled: 1-line block ×4, first 2 shown]
	s_waitcnt lgkmcnt(0)
	s_barrier
	ds_write2_b64 v16, v[0:1], v[2:3] offset0:2 offset1:3
	v_mov_b32_e32 v2, 1
	v_and_b32_sdwa v0, v21, v2 dst_sel:DWORD dst_unused:UNUSED_PAD src0_sel:BYTE_1 src1_sel:DWORD
	v_add_co_u32_e64 v1, s[24:25], -1, v0
	v_addc_co_u32_e64 v3, s[24:25], 0, -1, s[24:25]
	v_cmp_ne_u32_e64 s[24:25], 0, v0
	v_xor_b32_e32 v0, s25, v3
	v_mov_b32_e32 v3, 30
	v_lshlrev_b32_sdwa v5, v3, v21 dst_sel:DWORD dst_unused:UNUSED_PAD src0_sel:DWORD src1_sel:BYTE_1
	v_xor_b32_e32 v1, s24, v1
	v_cmp_gt_i64_e64 s[24:25], 0, v[4:5]
	v_not_b32_e32 v5, v5
	v_ashrrev_i32_e32 v5, 31, v5
	v_and_b32_e32 v0, exec_hi, v0
	v_xor_b32_e32 v24, s25, v5
	v_and_b32_e32 v1, exec_lo, v1
	v_xor_b32_e32 v5, s24, v5
	v_and_b32_e32 v0, v0, v24
	v_mov_b32_e32 v24, 29
	v_and_b32_e32 v1, v1, v5
	v_lshlrev_b32_sdwa v5, v24, v21 dst_sel:DWORD dst_unused:UNUSED_PAD src0_sel:DWORD src1_sel:BYTE_1
	v_cmp_gt_i64_e64 s[24:25], 0, v[4:5]
	v_not_b32_e32 v5, v5
	v_ashrrev_i32_e32 v5, 31, v5
	v_xor_b32_e32 v25, s25, v5
	v_xor_b32_e32 v5, s24, v5
	v_and_b32_e32 v0, v0, v25
	v_mov_b32_e32 v25, 28
	v_and_b32_e32 v1, v1, v5
	v_lshlrev_b32_sdwa v5, v25, v21 dst_sel:DWORD dst_unused:UNUSED_PAD src0_sel:DWORD src1_sel:BYTE_1
	v_cmp_gt_i64_e64 s[24:25], 0, v[4:5]
	v_not_b32_e32 v5, v5
	v_ashrrev_i32_e32 v5, 31, v5
	v_xor_b32_e32 v26, s25, v5
	;; [unrolled: 9-line block ×6, first 2 shown]
	v_xor_b32_e32 v5, s24, v1
	v_and_b32_e32 v1, v0, v4
	v_and_b32_e32 v0, v30, v5
	v_mbcnt_lo_u32_b32 v4, v0, 0
	v_mov_b32_e32 v22, 4
	v_mbcnt_hi_u32_b32 v4, v1, v4
	v_cmp_ne_u64_e64 s[24:25], 0, v[0:1]
	v_lshlrev_b32_sdwa v23, v22, v21 dst_sel:DWORD dst_unused:UNUSED_PAD src0_sel:DWORD src1_sel:BYTE_1
	v_cmp_eq_u32_e64 s[26:27], 0, v4
	s_and_b64 s[26:27], s[24:25], s[26:27]
	v_add_u32_e32 v5, v6, v23
	s_waitcnt lgkmcnt(0)
	s_barrier
	; wave barrier
	s_and_saveexec_b64 s[24:25], s[26:27]
; %bb.48:
	v_bcnt_u32_b32 v0, v0, 0
	v_bcnt_u32_b32 v0, v1, v0
	ds_write_b32 v5, v0 offset:16
; %bb.49:
	s_or_b64 exec, exec, s[24:25]
	v_and_b32_sdwa v1, v20, v2 dst_sel:DWORD dst_unused:UNUSED_PAD src0_sel:BYTE_1 src1_sel:DWORD
	v_add_co_u32_e64 v2, s[24:25], -1, v1
	v_addc_co_u32_e64 v30, s[24:25], 0, -1, s[24:25]
	v_cmp_ne_u32_e64 s[24:25], 0, v1
	v_lshlrev_b32_sdwa v0, v22, v20 dst_sel:DWORD dst_unused:UNUSED_PAD src0_sel:DWORD src1_sel:BYTE_1
	v_xor_b32_e32 v1, s25, v30
	v_add_u32_e32 v23, v6, v0
	v_mov_b32_e32 v0, 0
	v_and_b32_e32 v30, exec_hi, v1
	v_lshlrev_b32_sdwa v1, v3, v20 dst_sel:DWORD dst_unused:UNUSED_PAD src0_sel:DWORD src1_sel:BYTE_1
	v_xor_b32_e32 v2, s24, v2
	v_cmp_gt_i64_e64 s[24:25], 0, v[0:1]
	v_not_b32_e32 v1, v1
	v_ashrrev_i32_e32 v1, 31, v1
	v_and_b32_e32 v2, exec_lo, v2
	v_xor_b32_e32 v3, s25, v1
	v_xor_b32_e32 v1, s24, v1
	v_and_b32_e32 v2, v2, v1
	v_lshlrev_b32_sdwa v1, v24, v20 dst_sel:DWORD dst_unused:UNUSED_PAD src0_sel:DWORD src1_sel:BYTE_1
	v_cmp_gt_i64_e64 s[24:25], 0, v[0:1]
	v_not_b32_e32 v1, v1
	v_ashrrev_i32_e32 v1, 31, v1
	v_xor_b32_e32 v24, s25, v1
	v_xor_b32_e32 v1, s24, v1
	v_and_b32_e32 v2, v2, v1
	v_lshlrev_b32_sdwa v1, v25, v20 dst_sel:DWORD dst_unused:UNUSED_PAD src0_sel:DWORD src1_sel:BYTE_1
	v_cmp_gt_i64_e64 s[24:25], 0, v[0:1]
	v_not_b32_e32 v1, v1
	v_and_b32_e32 v3, v30, v3
	v_ashrrev_i32_e32 v1, 31, v1
	v_and_b32_e32 v3, v3, v24
	v_xor_b32_e32 v24, s25, v1
	v_xor_b32_e32 v1, s24, v1
	v_and_b32_e32 v2, v2, v1
	v_lshlrev_b32_sdwa v1, v26, v20 dst_sel:DWORD dst_unused:UNUSED_PAD src0_sel:DWORD src1_sel:BYTE_1
	v_cmp_gt_i64_e64 s[24:25], 0, v[0:1]
	v_not_b32_e32 v1, v1
	v_ashrrev_i32_e32 v1, 31, v1
	v_and_b32_e32 v3, v3, v24
	v_xor_b32_e32 v24, s25, v1
	v_xor_b32_e32 v1, s24, v1
	v_and_b32_e32 v2, v2, v1
	v_lshlrev_b32_sdwa v1, v27, v20 dst_sel:DWORD dst_unused:UNUSED_PAD src0_sel:DWORD src1_sel:BYTE_1
	v_cmp_gt_i64_e64 s[24:25], 0, v[0:1]
	v_not_b32_e32 v1, v1
	;; [unrolled: 8-line block ×3, first 2 shown]
	v_ashrrev_i32_e32 v1, 31, v1
	v_and_b32_e32 v3, v3, v24
	v_xor_b32_e32 v24, s25, v1
	v_xor_b32_e32 v1, s24, v1
	v_and_b32_e32 v3, v3, v24
	v_and_b32_e32 v24, v2, v1
	v_lshlrev_b32_sdwa v1, v29, v20 dst_sel:DWORD dst_unused:UNUSED_PAD src0_sel:DWORD src1_sel:BYTE_1
	v_cmp_gt_i64_e64 s[24:25], 0, v[0:1]
	v_not_b32_e32 v1, v1
	v_ashrrev_i32_e32 v1, 31, v1
	v_xor_b32_e32 v2, s25, v1
	v_xor_b32_e32 v1, s24, v1
	; wave barrier
	ds_read_b32 v22, v23 offset:16
	v_and_b32_e32 v1, v24, v1
	v_and_b32_e32 v2, v3, v2
	v_mbcnt_lo_u32_b32 v3, v1, 0
	v_mbcnt_hi_u32_b32 v24, v2, v3
	v_cmp_ne_u64_e64 s[24:25], 0, v[1:2]
	v_cmp_eq_u32_e64 s[26:27], 0, v24
	s_and_b64 s[26:27], s[24:25], s[26:27]
	; wave barrier
	s_and_saveexec_b64 s[24:25], s[26:27]
	s_cbranch_execz .LBB12_51
; %bb.50:
	v_bcnt_u32_b32 v1, v1, 0
	v_bcnt_u32_b32 v1, v2, v1
	s_waitcnt lgkmcnt(0)
	v_add_u32_e32 v1, v22, v1
	ds_write_b32 v23, v1 offset:16
.LBB12_51:
	s_or_b64 exec, exec, s[24:25]
	v_mov_b32_e32 v2, 4
	v_lshlrev_b32_sdwa v1, v2, v18 dst_sel:DWORD dst_unused:UNUSED_PAD src0_sel:DWORD src1_sel:BYTE_1
	v_mov_b32_e32 v3, 1
	v_add_u32_e32 v26, v6, v1
	v_and_b32_sdwa v1, v18, v3 dst_sel:DWORD dst_unused:UNUSED_PAD src0_sel:BYTE_1 src1_sel:DWORD
	v_add_co_u32_e64 v27, s[24:25], -1, v1
	v_addc_co_u32_e64 v28, s[24:25], 0, -1, s[24:25]
	v_cmp_ne_u32_e64 s[24:25], 0, v1
	v_xor_b32_e32 v1, s25, v28
	v_mov_b32_e32 v30, 30
	v_and_b32_e32 v28, exec_hi, v1
	v_lshlrev_b32_sdwa v1, v30, v18 dst_sel:DWORD dst_unused:UNUSED_PAD src0_sel:DWORD src1_sel:BYTE_1
	v_xor_b32_e32 v27, s24, v27
	v_cmp_gt_i64_e64 s[24:25], 0, v[0:1]
	v_not_b32_e32 v1, v1
	v_ashrrev_i32_e32 v1, 31, v1
	v_and_b32_e32 v27, exec_lo, v27
	v_xor_b32_e32 v29, s25, v1
	v_xor_b32_e32 v1, s24, v1
	v_mov_b32_e32 v31, 29
	v_and_b32_e32 v27, v27, v1
	v_lshlrev_b32_sdwa v1, v31, v18 dst_sel:DWORD dst_unused:UNUSED_PAD src0_sel:DWORD src1_sel:BYTE_1
	v_cmp_gt_i64_e64 s[24:25], 0, v[0:1]
	v_not_b32_e32 v1, v1
	v_ashrrev_i32_e32 v1, 31, v1
	v_and_b32_e32 v28, v28, v29
	v_xor_b32_e32 v29, s25, v1
	v_xor_b32_e32 v1, s24, v1
	v_mov_b32_e32 v32, 28
	v_and_b32_e32 v27, v27, v1
	v_lshlrev_b32_sdwa v1, v32, v18 dst_sel:DWORD dst_unused:UNUSED_PAD src0_sel:DWORD src1_sel:BYTE_1
	v_cmp_gt_i64_e64 s[24:25], 0, v[0:1]
	v_not_b32_e32 v1, v1
	v_ashrrev_i32_e32 v1, 31, v1
	v_and_b32_e32 v28, v28, v29
	;; [unrolled: 9-line block ×5, first 2 shown]
	v_xor_b32_e32 v29, s25, v1
	v_xor_b32_e32 v1, s24, v1
	v_mov_b32_e32 v36, 24
	v_and_b32_e32 v27, v27, v1
	v_lshlrev_b32_sdwa v1, v36, v18 dst_sel:DWORD dst_unused:UNUSED_PAD src0_sel:DWORD src1_sel:BYTE_1
	v_cmp_gt_i64_e64 s[24:25], 0, v[0:1]
	v_not_b32_e32 v0, v1
	v_ashrrev_i32_e32 v0, 31, v0
	v_xor_b32_e32 v1, s25, v0
	v_xor_b32_e32 v0, s24, v0
	; wave barrier
	ds_read_b32 v25, v26 offset:16
	v_and_b32_e32 v28, v28, v29
	v_and_b32_e32 v0, v27, v0
	;; [unrolled: 1-line block ×3, first 2 shown]
	v_mbcnt_lo_u32_b32 v27, v0, 0
	v_mbcnt_hi_u32_b32 v27, v1, v27
	v_cmp_ne_u64_e64 s[24:25], 0, v[0:1]
	v_cmp_eq_u32_e64 s[26:27], 0, v27
	s_and_b64 s[26:27], s[24:25], s[26:27]
	; wave barrier
	s_and_saveexec_b64 s[24:25], s[26:27]
	s_cbranch_execz .LBB12_53
; %bb.52:
	v_bcnt_u32_b32 v0, v0, 0
	v_bcnt_u32_b32 v0, v1, v0
	s_waitcnt lgkmcnt(0)
	v_add_u32_e32 v0, v25, v0
	ds_write_b32 v26, v0 offset:16
.LBB12_53:
	s_or_b64 exec, exec, s[24:25]
	v_and_b32_sdwa v1, v14, v3 dst_sel:DWORD dst_unused:UNUSED_PAD src0_sel:BYTE_1 src1_sel:DWORD
	v_lshlrev_b32_sdwa v0, v2, v14 dst_sel:DWORD dst_unused:UNUSED_PAD src0_sel:DWORD src1_sel:BYTE_1
	v_add_co_u32_e64 v2, s[24:25], -1, v1
	v_addc_co_u32_e64 v3, s[24:25], 0, -1, s[24:25]
	v_cmp_ne_u32_e64 s[24:25], 0, v1
	v_xor_b32_e32 v1, s25, v3
	v_add_u32_e32 v29, v6, v0
	v_mov_b32_e32 v0, 0
	v_and_b32_e32 v3, exec_hi, v1
	v_lshlrev_b32_sdwa v1, v30, v14 dst_sel:DWORD dst_unused:UNUSED_PAD src0_sel:DWORD src1_sel:BYTE_1
	v_xor_b32_e32 v2, s24, v2
	v_cmp_gt_i64_e64 s[24:25], 0, v[0:1]
	v_not_b32_e32 v1, v1
	v_ashrrev_i32_e32 v1, 31, v1
	v_and_b32_e32 v2, exec_lo, v2
	v_xor_b32_e32 v30, s25, v1
	v_xor_b32_e32 v1, s24, v1
	v_and_b32_e32 v2, v2, v1
	v_lshlrev_b32_sdwa v1, v31, v14 dst_sel:DWORD dst_unused:UNUSED_PAD src0_sel:DWORD src1_sel:BYTE_1
	v_cmp_gt_i64_e64 s[24:25], 0, v[0:1]
	v_not_b32_e32 v1, v1
	v_ashrrev_i32_e32 v1, 31, v1
	v_and_b32_e32 v3, v3, v30
	v_xor_b32_e32 v30, s25, v1
	v_xor_b32_e32 v1, s24, v1
	v_and_b32_e32 v2, v2, v1
	v_lshlrev_b32_sdwa v1, v32, v14 dst_sel:DWORD dst_unused:UNUSED_PAD src0_sel:DWORD src1_sel:BYTE_1
	v_cmp_gt_i64_e64 s[24:25], 0, v[0:1]
	v_not_b32_e32 v1, v1
	v_ashrrev_i32_e32 v1, 31, v1
	v_and_b32_e32 v3, v3, v30
	;; [unrolled: 8-line block ×5, first 2 shown]
	v_xor_b32_e32 v30, s25, v1
	v_xor_b32_e32 v1, s24, v1
	v_and_b32_e32 v3, v3, v30
	v_and_b32_e32 v30, v2, v1
	v_lshlrev_b32_sdwa v1, v36, v14 dst_sel:DWORD dst_unused:UNUSED_PAD src0_sel:DWORD src1_sel:BYTE_1
	v_cmp_gt_i64_e64 s[24:25], 0, v[0:1]
	v_not_b32_e32 v1, v1
	v_ashrrev_i32_e32 v1, 31, v1
	v_xor_b32_e32 v2, s25, v1
	v_xor_b32_e32 v1, s24, v1
	; wave barrier
	ds_read_b32 v28, v29 offset:16
	v_and_b32_e32 v1, v30, v1
	v_and_b32_e32 v2, v3, v2
	v_mbcnt_lo_u32_b32 v3, v1, 0
	v_mbcnt_hi_u32_b32 v30, v2, v3
	v_cmp_ne_u64_e64 s[24:25], 0, v[1:2]
	v_cmp_eq_u32_e64 s[26:27], 0, v30
	s_and_b64 s[26:27], s[24:25], s[26:27]
	; wave barrier
	s_and_saveexec_b64 s[24:25], s[26:27]
	s_cbranch_execz .LBB12_55
; %bb.54:
	v_bcnt_u32_b32 v1, v1, 0
	v_bcnt_u32_b32 v1, v2, v1
	s_waitcnt lgkmcnt(0)
	v_add_u32_e32 v1, v28, v1
	ds_write_b32 v29, v1 offset:16
.LBB12_55:
	s_or_b64 exec, exec, s[24:25]
	v_mov_b32_e32 v2, 4
	v_lshlrev_b32_sdwa v1, v2, v13 dst_sel:DWORD dst_unused:UNUSED_PAD src0_sel:DWORD src1_sel:BYTE_1
	v_mov_b32_e32 v3, 1
	v_add_u32_e32 v32, v6, v1
	v_and_b32_sdwa v1, v13, v3 dst_sel:DWORD dst_unused:UNUSED_PAD src0_sel:BYTE_1 src1_sel:DWORD
	v_add_co_u32_e64 v33, s[24:25], -1, v1
	v_addc_co_u32_e64 v34, s[24:25], 0, -1, s[24:25]
	v_cmp_ne_u32_e64 s[24:25], 0, v1
	v_xor_b32_e32 v1, s25, v34
	v_mov_b32_e32 v36, 30
	v_and_b32_e32 v34, exec_hi, v1
	v_lshlrev_b32_sdwa v1, v36, v13 dst_sel:DWORD dst_unused:UNUSED_PAD src0_sel:DWORD src1_sel:BYTE_1
	v_xor_b32_e32 v33, s24, v33
	v_cmp_gt_i64_e64 s[24:25], 0, v[0:1]
	v_not_b32_e32 v1, v1
	v_ashrrev_i32_e32 v1, 31, v1
	v_and_b32_e32 v33, exec_lo, v33
	v_xor_b32_e32 v35, s25, v1
	v_xor_b32_e32 v1, s24, v1
	v_mov_b32_e32 v37, 29
	v_and_b32_e32 v33, v33, v1
	v_lshlrev_b32_sdwa v1, v37, v13 dst_sel:DWORD dst_unused:UNUSED_PAD src0_sel:DWORD src1_sel:BYTE_1
	v_cmp_gt_i64_e64 s[24:25], 0, v[0:1]
	v_not_b32_e32 v1, v1
	v_ashrrev_i32_e32 v1, 31, v1
	v_and_b32_e32 v34, v34, v35
	v_xor_b32_e32 v35, s25, v1
	v_xor_b32_e32 v1, s24, v1
	v_mov_b32_e32 v38, 28
	v_and_b32_e32 v33, v33, v1
	v_lshlrev_b32_sdwa v1, v38, v13 dst_sel:DWORD dst_unused:UNUSED_PAD src0_sel:DWORD src1_sel:BYTE_1
	v_cmp_gt_i64_e64 s[24:25], 0, v[0:1]
	v_not_b32_e32 v1, v1
	v_ashrrev_i32_e32 v1, 31, v1
	v_and_b32_e32 v34, v34, v35
	;; [unrolled: 9-line block ×5, first 2 shown]
	v_xor_b32_e32 v35, s25, v1
	v_xor_b32_e32 v1, s24, v1
	v_mov_b32_e32 v42, 24
	v_and_b32_e32 v33, v33, v1
	v_lshlrev_b32_sdwa v1, v42, v13 dst_sel:DWORD dst_unused:UNUSED_PAD src0_sel:DWORD src1_sel:BYTE_1
	v_cmp_gt_i64_e64 s[24:25], 0, v[0:1]
	v_not_b32_e32 v0, v1
	v_ashrrev_i32_e32 v0, 31, v0
	v_xor_b32_e32 v1, s25, v0
	v_xor_b32_e32 v0, s24, v0
	; wave barrier
	ds_read_b32 v31, v32 offset:16
	v_and_b32_e32 v34, v34, v35
	v_and_b32_e32 v0, v33, v0
	;; [unrolled: 1-line block ×3, first 2 shown]
	v_mbcnt_lo_u32_b32 v33, v0, 0
	v_mbcnt_hi_u32_b32 v33, v1, v33
	v_cmp_ne_u64_e64 s[24:25], 0, v[0:1]
	v_cmp_eq_u32_e64 s[26:27], 0, v33
	s_and_b64 s[26:27], s[24:25], s[26:27]
	; wave barrier
	s_and_saveexec_b64 s[24:25], s[26:27]
	s_cbranch_execz .LBB12_57
; %bb.56:
	v_bcnt_u32_b32 v0, v0, 0
	v_bcnt_u32_b32 v0, v1, v0
	s_waitcnt lgkmcnt(0)
	v_add_u32_e32 v0, v31, v0
	ds_write_b32 v32, v0 offset:16
.LBB12_57:
	s_or_b64 exec, exec, s[24:25]
	v_and_b32_sdwa v1, v12, v3 dst_sel:DWORD dst_unused:UNUSED_PAD src0_sel:BYTE_1 src1_sel:DWORD
	v_lshlrev_b32_sdwa v0, v2, v12 dst_sel:DWORD dst_unused:UNUSED_PAD src0_sel:DWORD src1_sel:BYTE_1
	v_add_co_u32_e64 v2, s[24:25], -1, v1
	v_addc_co_u32_e64 v3, s[24:25], 0, -1, s[24:25]
	v_cmp_ne_u32_e64 s[24:25], 0, v1
	v_xor_b32_e32 v1, s25, v3
	v_add_u32_e32 v35, v6, v0
	v_mov_b32_e32 v0, 0
	v_and_b32_e32 v3, exec_hi, v1
	v_lshlrev_b32_sdwa v1, v36, v12 dst_sel:DWORD dst_unused:UNUSED_PAD src0_sel:DWORD src1_sel:BYTE_1
	v_xor_b32_e32 v2, s24, v2
	v_cmp_gt_i64_e64 s[24:25], 0, v[0:1]
	v_not_b32_e32 v1, v1
	v_ashrrev_i32_e32 v1, 31, v1
	v_and_b32_e32 v2, exec_lo, v2
	v_xor_b32_e32 v36, s25, v1
	v_xor_b32_e32 v1, s24, v1
	v_and_b32_e32 v2, v2, v1
	v_lshlrev_b32_sdwa v1, v37, v12 dst_sel:DWORD dst_unused:UNUSED_PAD src0_sel:DWORD src1_sel:BYTE_1
	v_cmp_gt_i64_e64 s[24:25], 0, v[0:1]
	v_not_b32_e32 v1, v1
	v_ashrrev_i32_e32 v1, 31, v1
	v_and_b32_e32 v3, v3, v36
	v_xor_b32_e32 v36, s25, v1
	v_xor_b32_e32 v1, s24, v1
	v_and_b32_e32 v2, v2, v1
	v_lshlrev_b32_sdwa v1, v38, v12 dst_sel:DWORD dst_unused:UNUSED_PAD src0_sel:DWORD src1_sel:BYTE_1
	v_cmp_gt_i64_e64 s[24:25], 0, v[0:1]
	v_not_b32_e32 v1, v1
	v_ashrrev_i32_e32 v1, 31, v1
	v_and_b32_e32 v3, v3, v36
	;; [unrolled: 8-line block ×5, first 2 shown]
	v_xor_b32_e32 v36, s25, v1
	v_xor_b32_e32 v1, s24, v1
	v_and_b32_e32 v3, v3, v36
	v_and_b32_e32 v36, v2, v1
	v_lshlrev_b32_sdwa v1, v42, v12 dst_sel:DWORD dst_unused:UNUSED_PAD src0_sel:DWORD src1_sel:BYTE_1
	v_cmp_gt_i64_e64 s[24:25], 0, v[0:1]
	v_not_b32_e32 v1, v1
	v_ashrrev_i32_e32 v1, 31, v1
	v_xor_b32_e32 v2, s25, v1
	v_xor_b32_e32 v1, s24, v1
	; wave barrier
	ds_read_b32 v34, v35 offset:16
	v_and_b32_e32 v1, v36, v1
	v_and_b32_e32 v2, v3, v2
	v_mbcnt_lo_u32_b32 v3, v1, 0
	v_mbcnt_hi_u32_b32 v36, v2, v3
	v_cmp_ne_u64_e64 s[24:25], 0, v[1:2]
	v_cmp_eq_u32_e64 s[26:27], 0, v36
	s_and_b64 s[26:27], s[24:25], s[26:27]
	; wave barrier
	s_and_saveexec_b64 s[24:25], s[26:27]
	s_cbranch_execz .LBB12_59
; %bb.58:
	v_bcnt_u32_b32 v1, v1, 0
	v_bcnt_u32_b32 v1, v2, v1
	s_waitcnt lgkmcnt(0)
	v_add_u32_e32 v1, v34, v1
	ds_write_b32 v35, v1 offset:16
.LBB12_59:
	s_or_b64 exec, exec, s[24:25]
	v_mov_b32_e32 v1, 4
	v_lshlrev_b32_sdwa v1, v1, v10 dst_sel:DWORD dst_unused:UNUSED_PAD src0_sel:DWORD src1_sel:BYTE_1
	v_add_u32_e32 v37, v6, v1
	v_mov_b32_e32 v1, 1
	v_and_b32_sdwa v1, v10, v1 dst_sel:DWORD dst_unused:UNUSED_PAD src0_sel:BYTE_1 src1_sel:DWORD
	v_add_co_u32_e64 v2, s[24:25], -1, v1
	v_addc_co_u32_e64 v3, s[24:25], 0, -1, s[24:25]
	v_cmp_ne_u32_e64 s[24:25], 0, v1
	v_xor_b32_e32 v1, s25, v3
	v_and_b32_e32 v3, exec_hi, v1
	v_mov_b32_e32 v1, 30
	v_lshlrev_b32_sdwa v1, v1, v10 dst_sel:DWORD dst_unused:UNUSED_PAD src0_sel:DWORD src1_sel:BYTE_1
	v_xor_b32_e32 v2, s24, v2
	v_cmp_gt_i64_e64 s[24:25], 0, v[0:1]
	v_not_b32_e32 v1, v1
	v_ashrrev_i32_e32 v1, 31, v1
	v_and_b32_e32 v2, exec_lo, v2
	v_xor_b32_e32 v38, s25, v1
	v_xor_b32_e32 v1, s24, v1
	v_and_b32_e32 v2, v2, v1
	v_mov_b32_e32 v1, 29
	v_lshlrev_b32_sdwa v1, v1, v10 dst_sel:DWORD dst_unused:UNUSED_PAD src0_sel:DWORD src1_sel:BYTE_1
	v_cmp_gt_i64_e64 s[24:25], 0, v[0:1]
	v_not_b32_e32 v1, v1
	v_ashrrev_i32_e32 v1, 31, v1
	v_and_b32_e32 v3, v3, v38
	v_xor_b32_e32 v38, s25, v1
	v_xor_b32_e32 v1, s24, v1
	v_and_b32_e32 v2, v2, v1
	v_mov_b32_e32 v1, 28
	v_lshlrev_b32_sdwa v1, v1, v10 dst_sel:DWORD dst_unused:UNUSED_PAD src0_sel:DWORD src1_sel:BYTE_1
	v_cmp_gt_i64_e64 s[24:25], 0, v[0:1]
	v_not_b32_e32 v1, v1
	v_ashrrev_i32_e32 v1, 31, v1
	v_and_b32_e32 v3, v3, v38
	;; [unrolled: 9-line block ×5, first 2 shown]
	v_xor_b32_e32 v38, s25, v1
	v_xor_b32_e32 v1, s24, v1
	v_and_b32_e32 v2, v2, v1
	v_mov_b32_e32 v1, 24
	v_lshlrev_b32_sdwa v1, v1, v10 dst_sel:DWORD dst_unused:UNUSED_PAD src0_sel:DWORD src1_sel:BYTE_1
	v_cmp_gt_i64_e64 s[24:25], 0, v[0:1]
	v_not_b32_e32 v0, v1
	v_ashrrev_i32_e32 v0, 31, v0
	v_xor_b32_e32 v1, s25, v0
	v_xor_b32_e32 v0, s24, v0
	; wave barrier
	ds_read_b32 v6, v37 offset:16
	v_and_b32_e32 v3, v3, v38
	v_and_b32_e32 v0, v2, v0
	;; [unrolled: 1-line block ×3, first 2 shown]
	v_mbcnt_lo_u32_b32 v2, v0, 0
	v_mbcnt_hi_u32_b32 v38, v1, v2
	v_cmp_ne_u64_e64 s[24:25], 0, v[0:1]
	v_cmp_eq_u32_e64 s[26:27], 0, v38
	s_and_b64 s[26:27], s[24:25], s[26:27]
	; wave barrier
	s_and_saveexec_b64 s[24:25], s[26:27]
	s_cbranch_execz .LBB12_61
; %bb.60:
	v_bcnt_u32_b32 v0, v0, 0
	v_bcnt_u32_b32 v0, v1, v0
	s_waitcnt lgkmcnt(0)
	v_add_u32_e32 v0, v6, v0
	ds_write_b32 v37, v0 offset:16
.LBB12_61:
	s_or_b64 exec, exec, s[24:25]
	; wave barrier
	s_waitcnt lgkmcnt(0)
	s_barrier
	ds_read2_b64 v[0:3], v16 offset0:2 offset1:3
	s_waitcnt lgkmcnt(0)
	v_add_u32_e32 v39, v1, v0
	v_add3_u32 v3, v39, v2, v3
	s_nop 1
	v_mov_b32_dpp v39, v3 row_shr:1 row_mask:0xf bank_mask:0xf
	v_cndmask_b32_e64 v39, v39, 0, s[8:9]
	v_add_u32_e32 v3, v39, v3
	s_nop 1
	v_mov_b32_dpp v39, v3 row_shr:2 row_mask:0xf bank_mask:0xf
	v_cndmask_b32_e64 v39, 0, v39, s[10:11]
	v_add_u32_e32 v3, v3, v39
	;; [unrolled: 4-line block ×4, first 2 shown]
	s_nop 1
	v_mov_b32_dpp v39, v3 row_bcast:15 row_mask:0xf bank_mask:0xf
	v_cndmask_b32_e64 v39, v39, 0, s[0:1]
	v_add_u32_e32 v3, v3, v39
	s_nop 1
	v_mov_b32_dpp v39, v3 row_bcast:31 row_mask:0xf bank_mask:0xf
	v_cndmask_b32_e64 v39, 0, v39, s[18:19]
	v_add_u32_e32 v3, v3, v39
	s_and_saveexec_b64 s[0:1], vcc
; %bb.62:
	ds_write_b32 v17, v3
; %bb.63:
	s_or_b64 exec, exec, s[0:1]
	s_waitcnt lgkmcnt(0)
	s_barrier
	s_and_saveexec_b64 s[0:1], s[12:13]
	s_cbranch_execz .LBB12_65
; %bb.64:
	ds_read_b32 v17, v9
	s_waitcnt lgkmcnt(0)
	s_nop 0
	v_mov_b32_dpp v39, v17 row_shr:1 row_mask:0xf bank_mask:0xf
	v_cndmask_b32_e64 v39, v39, 0, s[6:7]
	v_add_u32_e32 v17, v39, v17
	s_nop 1
	v_mov_b32_dpp v39, v17 row_shr:2 row_mask:0xf bank_mask:0xf
	v_cndmask_b32_e64 v39, 0, v39, s[4:5]
	v_add_u32_e32 v17, v17, v39
	ds_write_b32 v9, v17
.LBB12_65:
	s_or_b64 exec, exec, s[0:1]
	v_mov_b32_e32 v9, 0
	s_waitcnt lgkmcnt(0)
	s_barrier
	s_and_saveexec_b64 s[0:1], s[20:21]
; %bb.66:
	ds_read_b32 v9, v11
; %bb.67:
	s_or_b64 exec, exec, s[0:1]
	s_waitcnt lgkmcnt(0)
	v_add_u32_e32 v3, v9, v3
	ds_bpermute_b32 v3, v19, v3
	v_lshlrev_b32_e32 v4, 1, v4
	s_waitcnt lgkmcnt(0)
	v_cndmask_b32_e64 v3, v3, v9, s[2:3]
	v_cndmask_b32_e64 v39, v3, 0, s[22:23]
	v_add_u32_e32 v40, v39, v0
	v_add_u32_e32 v0, v40, v1
	;; [unrolled: 1-line block ×3, first 2 shown]
	ds_write2_b64 v16, v[39:40], v[0:1] offset0:2 offset1:3
	s_waitcnt lgkmcnt(0)
	s_barrier
	ds_read_b32 v0, v37 offset:16
	ds_read_b32 v1, v5 offset:16
	;; [unrolled: 1-line block ×7, first 2 shown]
	s_waitcnt lgkmcnt(5)
	v_lshl_add_u32 v1, v1, 1, v4
	s_waitcnt lgkmcnt(0)
	s_barrier
	ds_write_b16 v1, v21
	v_lshlrev_b32_e32 v1, 1, v24
	v_lshlrev_b32_e32 v4, 1, v22
	v_lshlrev_b32_e32 v11, 1, v11
	v_add3_u32 v1, v1, v4, v11
	ds_write_b16 v1, v20
	v_lshlrev_b32_e32 v1, 1, v27
	v_lshlrev_b32_e32 v4, 1, v25
	v_lshlrev_b32_e32 v9, 1, v9
	v_add3_u32 v1, v1, v4, v9
	;; [unrolled: 5-line block ×6, first 2 shown]
	ds_write_b16 v0, v10
	s_waitcnt lgkmcnt(0)
	s_barrier
.LBB12_68:
	s_waitcnt lgkmcnt(0)
	ds_read_u16 v3, v15 offset:12
	ds_read_b96 v[0:2], v15
	s_waitcnt lgkmcnt(1)
	global_store_short v[7:8], v3, off offset:12
	s_waitcnt lgkmcnt(0)
	global_store_dwordx3 v[7:8], v[0:2], off
	s_endpgm
	.section	.rodata,"a",@progbits
	.p2align	6, 0x0
	.amdhsa_kernel _Z15sort_key_kernelILj256ELj7ELb0ELb0EtEvPT3_jj
		.amdhsa_group_segment_fixed_size 4112
		.amdhsa_private_segment_fixed_size 0
		.amdhsa_kernarg_size 272
		.amdhsa_user_sgpr_count 6
		.amdhsa_user_sgpr_private_segment_buffer 1
		.amdhsa_user_sgpr_dispatch_ptr 0
		.amdhsa_user_sgpr_queue_ptr 0
		.amdhsa_user_sgpr_kernarg_segment_ptr 1
		.amdhsa_user_sgpr_dispatch_id 0
		.amdhsa_user_sgpr_flat_scratch_init 0
		.amdhsa_user_sgpr_private_segment_size 0
		.amdhsa_uses_dynamic_stack 0
		.amdhsa_system_sgpr_private_segment_wavefront_offset 0
		.amdhsa_system_sgpr_workgroup_id_x 1
		.amdhsa_system_sgpr_workgroup_id_y 0
		.amdhsa_system_sgpr_workgroup_id_z 0
		.amdhsa_system_sgpr_workgroup_info 0
		.amdhsa_system_vgpr_workitem_id 2
		.amdhsa_next_free_vgpr 59
		.amdhsa_next_free_sgpr 40
		.amdhsa_reserve_vcc 1
		.amdhsa_reserve_flat_scratch 0
		.amdhsa_float_round_mode_32 0
		.amdhsa_float_round_mode_16_64 0
		.amdhsa_float_denorm_mode_32 3
		.amdhsa_float_denorm_mode_16_64 3
		.amdhsa_dx10_clamp 1
		.amdhsa_ieee_mode 1
		.amdhsa_fp16_overflow 0
		.amdhsa_exception_fp_ieee_invalid_op 0
		.amdhsa_exception_fp_denorm_src 0
		.amdhsa_exception_fp_ieee_div_zero 0
		.amdhsa_exception_fp_ieee_overflow 0
		.amdhsa_exception_fp_ieee_underflow 0
		.amdhsa_exception_fp_ieee_inexact 0
		.amdhsa_exception_int_div_zero 0
	.end_amdhsa_kernel
	.section	.text._Z15sort_key_kernelILj256ELj7ELb0ELb0EtEvPT3_jj,"axG",@progbits,_Z15sort_key_kernelILj256ELj7ELb0ELb0EtEvPT3_jj,comdat
.Lfunc_end12:
	.size	_Z15sort_key_kernelILj256ELj7ELb0ELb0EtEvPT3_jj, .Lfunc_end12-_Z15sort_key_kernelILj256ELj7ELb0ELb0EtEvPT3_jj
                                        ; -- End function
	.set _Z15sort_key_kernelILj256ELj7ELb0ELb0EtEvPT3_jj.num_vgpr, 59
	.set _Z15sort_key_kernelILj256ELj7ELb0ELb0EtEvPT3_jj.num_agpr, 0
	.set _Z15sort_key_kernelILj256ELj7ELb0ELb0EtEvPT3_jj.numbered_sgpr, 40
	.set _Z15sort_key_kernelILj256ELj7ELb0ELb0EtEvPT3_jj.num_named_barrier, 0
	.set _Z15sort_key_kernelILj256ELj7ELb0ELb0EtEvPT3_jj.private_seg_size, 0
	.set _Z15sort_key_kernelILj256ELj7ELb0ELb0EtEvPT3_jj.uses_vcc, 1
	.set _Z15sort_key_kernelILj256ELj7ELb0ELb0EtEvPT3_jj.uses_flat_scratch, 0
	.set _Z15sort_key_kernelILj256ELj7ELb0ELb0EtEvPT3_jj.has_dyn_sized_stack, 0
	.set _Z15sort_key_kernelILj256ELj7ELb0ELb0EtEvPT3_jj.has_recursion, 0
	.set _Z15sort_key_kernelILj256ELj7ELb0ELb0EtEvPT3_jj.has_indirect_call, 0
	.section	.AMDGPU.csdata,"",@progbits
; Kernel info:
; codeLenInByte = 11440
; TotalNumSgprs: 44
; NumVgprs: 59
; ScratchSize: 0
; MemoryBound: 0
; FloatMode: 240
; IeeeMode: 1
; LDSByteSize: 4112 bytes/workgroup (compile time only)
; SGPRBlocks: 5
; VGPRBlocks: 14
; NumSGPRsForWavesPerEU: 44
; NumVGPRsForWavesPerEU: 59
; Occupancy: 4
; WaveLimiterHint : 0
; COMPUTE_PGM_RSRC2:SCRATCH_EN: 0
; COMPUTE_PGM_RSRC2:USER_SGPR: 6
; COMPUTE_PGM_RSRC2:TRAP_HANDLER: 0
; COMPUTE_PGM_RSRC2:TGID_X_EN: 1
; COMPUTE_PGM_RSRC2:TGID_Y_EN: 0
; COMPUTE_PGM_RSRC2:TGID_Z_EN: 0
; COMPUTE_PGM_RSRC2:TIDIG_COMP_CNT: 2
	.section	.text._Z15sort_key_kernelILj128ELj4ELb0ELb0EiEvPT3_jj,"axG",@progbits,_Z15sort_key_kernelILj128ELj4ELb0ELb0EiEvPT3_jj,comdat
	.protected	_Z15sort_key_kernelILj128ELj4ELb0ELb0EiEvPT3_jj ; -- Begin function _Z15sort_key_kernelILj128ELj4ELb0ELb0EiEvPT3_jj
	.globl	_Z15sort_key_kernelILj128ELj4ELb0ELb0EiEvPT3_jj
	.p2align	8
	.type	_Z15sort_key_kernelILj128ELj4ELb0ELb0EiEvPT3_jj,@function
_Z15sort_key_kernelILj128ELj4ELb0ELb0EiEvPT3_jj: ; @_Z15sort_key_kernelILj128ELj4ELb0ELb0EiEvPT3_jj
; %bb.0:
	s_load_dwordx4 s[36:39], s[4:5], 0x0
	s_mov_b32 s40, 0
	s_lshl_b32 s0, s6, 9
	s_mov_b32 s1, s40
	s_lshl_b64 s[0:1], s[0:1], 2
	s_waitcnt lgkmcnt(0)
	s_add_u32 s20, s36, s0
	s_addc_u32 s21, s37, s1
	v_lshlrev_b32_e32 v7, 4, v0
	global_load_dwordx4 v[3:6], v7, s[20:21]
	v_mbcnt_lo_u32_b32 v8, -1, 0
	v_mbcnt_hi_u32_b32 v12, -1, v8
	v_lshrrev_b32_e32 v8, 2, v12
	v_and_b32_e32 v19, 64, v12
	v_and_b32_e32 v10, 3, v12
	s_cmp_lg_u32 s38, 0
	v_cmp_eq_u32_e64 s[0:1], 3, v10
	v_cmp_eq_u32_e64 s[2:3], 2, v10
	;; [unrolled: 1-line block ×4, first 2 shown]
	v_or_b32_e32 v10, v8, v19
	v_add_u32_e32 v14, 48, v8
	v_mov_b32_e32 v8, s21
	v_add_co_u32_e32 v7, vcc, s20, v7
	s_cselect_b64 s[20:21], -1, 0
	s_cmp_lg_u32 s39, 32
	s_cselect_b64 s[22:23], -1, 0
	v_lshlrev_b32_e32 v11, 2, v0
	v_lshlrev_b32_e32 v13, 2, v10
	v_addc_co_u32_e32 v8, vcc, 0, v8, vcc
	s_or_b64 s[20:21], s[20:21], s[22:23]
	v_mov_b32_e32 v9, 0
	s_mov_b64 s[18:19], -1
	v_or_b32_e32 v18, 63, v0
	v_cmp_gt_u32_e64 s[10:11], 2, v0
	v_cmp_lt_u32_e64 s[12:13], 63, v0
	v_cmp_eq_u32_e64 s[14:15], 0, v0
	v_lshrrev_b32_e32 v17, 4, v0
	v_mul_i32_i24_e32 v16, -12, v0
	v_lshlrev_b32_e32 v15, 2, v11
	v_and_b32_e32 v21, 15, v12
	v_and_b32_e32 v22, 16, v12
	v_cmp_lt_u32_e64 s[16:17], 31, v12
	v_and_b32_e32 v20, 1, v12
	v_add_u32_e32 v27, 64, v13
	s_and_b64 vcc, exec, s[20:21]
	s_waitcnt vmcnt(0)
	v_xor_b32_e32 v26, 0x80000000, v3
	v_xor_b32_e32 v25, 0x80000000, v4
	;; [unrolled: 1-line block ×4, first 2 shown]
	s_cbranch_vccz .LBB13_20
; %bb.1:
	ds_bpermute_b32 v3, v13, v26
	ds_bpermute_b32 v4, v13, v25
	;; [unrolled: 1-line block ×5, first 2 shown]
	s_waitcnt lgkmcnt(4)
	v_cndmask_b32_e64 v3, 0, v3, s[8:9]
	s_waitcnt lgkmcnt(3)
	v_cndmask_b32_e64 v3, v3, v4, s[6:7]
	ds_bpermute_b32 v4, v27, v25
	ds_bpermute_b32 v28, v27, v24
	s_waitcnt lgkmcnt(4)
	v_cndmask_b32_e64 v3, v3, v5, s[2:3]
	s_waitcnt lgkmcnt(3)
	v_cndmask_b32_e64 v3, v3, v6, s[0:1]
	;; [unrolled: 2-line block ×3, first 2 shown]
	v_xor_b32_e32 v6, 0x80, v13
	s_waitcnt lgkmcnt(1)
	v_cndmask_b32_e64 v4, v5, v4, s[6:7]
	ds_bpermute_b32 v5, v27, v23
	ds_bpermute_b32 v10, v6, v26
	s_waitcnt lgkmcnt(2)
	v_cndmask_b32_e64 v4, v4, v28, s[2:3]
	ds_bpermute_b32 v28, v6, v25
	ds_bpermute_b32 v29, v6, v24
	;; [unrolled: 1-line block ×3, first 2 shown]
	s_waitcnt lgkmcnt(4)
	v_cndmask_b32_e64 v4, v4, v5, s[0:1]
	s_waitcnt lgkmcnt(3)
	v_cndmask_b32_e64 v5, 0, v10, s[8:9]
	;; [unrolled: 2-line block ×5, first 2 shown]
	v_and_or_b32 v6, v14, 63, v19
	v_lshlrev_b32_e32 v6, 2, v6
	ds_bpermute_b32 v10, v6, v26
	ds_bpermute_b32 v28, v6, v25
	;; [unrolled: 1-line block ×3, first 2 shown]
	s_waitcnt lgkmcnt(0)
	s_barrier
	s_load_dword s18, s[4:5], 0x1c
	ds_bpermute_b32 v6, v6, v23
	v_cndmask_b32_e64 v10, 0, v10, s[8:9]
	v_cndmask_b32_e64 v10, v10, v28, s[6:7]
	;; [unrolled: 1-line block ×3, first 2 shown]
	s_waitcnt lgkmcnt(0)
	s_lshr_b32 s19, s18, 16
	v_cndmask_b32_e64 v6, v10, v6, s[0:1]
	s_and_b32 s18, s18, 0xffff
	v_mad_u32_u24 v10, v2, s19, v1
	v_subrev_co_u32_e64 v28, s[30:31], 1, v12
	v_mad_u32_u24 v10, v10, s18, v0
	v_cmp_lt_i32_e32 vcc, v28, v19
	s_movk_i32 s33, 0x100
	v_cndmask_b32_e32 v28, v28, v12, vcc
	v_and_b32_e32 v29, 4, v17
	v_and_or_b32 v31, v11, s33, v12
	v_lshrrev_b32_e32 v10, 4, v10
	v_cmp_eq_u32_e64 s[18:19], 0, v21
	v_cmp_lt_u32_e64 s[20:21], 1, v21
	v_cmp_lt_u32_e64 s[22:23], 3, v21
	;; [unrolled: 1-line block ×3, first 2 shown]
	v_cmp_eq_u32_e64 s[26:27], 0, v22
	v_cmp_eq_u32_e64 s[28:29], v0, v18
	v_lshlrev_b32_e32 v28, 2, v28
	v_cmp_eq_u32_e64 s[34:35], 0, v20
	v_add_u32_e32 v30, -4, v29
	v_lshlrev_b32_e32 v31, 2, v31
	v_and_b32_e32 v32, 0xffffffc, v10
	s_sub_i32 s33, s39, s38
	s_mov_b32 s41, s40
	s_mov_b32 s42, s40
	;; [unrolled: 1-line block ×3, first 2 shown]
	v_add_u32_e32 v33, v15, v16
	s_branch .LBB13_3
.LBB13_2:                               ;   in Loop: Header=BB13_3 Depth=1
	s_andn2_b64 vcc, exec, s[36:37]
	s_mov_b32 s33, s44
	s_cbranch_vccz .LBB13_19
.LBB13_3:                               ; =>This Inner Loop Header: Depth=1
	v_mov_b32_e32 v34, v6
	v_mov_b32_e32 v35, v5
	;; [unrolled: 1-line block ×4, first 2 shown]
	s_min_u32 s36, s33, 8
	v_mov_b32_e32 v3, s40
	v_mov_b32_e32 v5, s42
	;; [unrolled: 1-line block ×4, first 2 shown]
	s_lshl_b32 s36, -1, s36
	ds_write2_b64 v15, v[3:4], v[5:6] offset0:1 offset1:2
	s_not_b32 s44, s36
	v_lshrrev_b32_e32 v3, s38, v37
	v_and_b32_e32 v3, s44, v3
	v_and_b32_e32 v4, 1, v3
	v_add_co_u32_e32 v6, vcc, -1, v4
	v_addc_co_u32_e64 v10, s[36:37], 0, -1, vcc
	v_cmp_ne_u32_e32 vcc, 0, v4
	v_xor_b32_e32 v4, vcc_hi, v10
	v_lshlrev_b32_e32 v10, 30, v3
	v_xor_b32_e32 v6, vcc_lo, v6
	v_cmp_gt_i64_e32 vcc, 0, v[9:10]
	v_not_b32_e32 v10, v10
	v_ashrrev_i32_e32 v10, 31, v10
	v_and_b32_e32 v6, exec_lo, v6
	v_xor_b32_e32 v38, vcc_hi, v10
	v_xor_b32_e32 v10, vcc_lo, v10
	v_and_b32_e32 v6, v6, v10
	v_lshlrev_b32_e32 v10, 29, v3
	v_cmp_gt_i64_e32 vcc, 0, v[9:10]
	v_not_b32_e32 v10, v10
	v_and_b32_e32 v4, exec_hi, v4
	v_ashrrev_i32_e32 v10, 31, v10
	v_and_b32_e32 v4, v4, v38
	v_xor_b32_e32 v38, vcc_hi, v10
	v_xor_b32_e32 v10, vcc_lo, v10
	v_and_b32_e32 v6, v6, v10
	v_lshlrev_b32_e32 v10, 28, v3
	v_cmp_gt_i64_e32 vcc, 0, v[9:10]
	v_not_b32_e32 v10, v10
	v_ashrrev_i32_e32 v10, 31, v10
	v_and_b32_e32 v4, v4, v38
	v_xor_b32_e32 v38, vcc_hi, v10
	v_xor_b32_e32 v10, vcc_lo, v10
	v_and_b32_e32 v6, v6, v10
	v_lshlrev_b32_e32 v10, 27, v3
	v_cmp_gt_i64_e32 vcc, 0, v[9:10]
	v_not_b32_e32 v10, v10
	;; [unrolled: 8-line block ×4, first 2 shown]
	v_ashrrev_i32_e32 v10, 31, v10
	v_and_b32_e32 v4, v4, v38
	v_xor_b32_e32 v38, vcc_hi, v10
	v_xor_b32_e32 v10, vcc_lo, v10
	v_and_b32_e32 v6, v6, v10
	v_lshlrev_b32_e32 v10, 24, v3
	v_lshlrev_b32_e32 v5, 3, v3
	v_cmp_gt_i64_e32 vcc, 0, v[9:10]
	v_not_b32_e32 v3, v10
	v_ashrrev_i32_e32 v3, 31, v3
	v_xor_b32_e32 v10, vcc_hi, v3
	v_xor_b32_e32 v3, vcc_lo, v3
	v_and_b32_e32 v4, v4, v38
	v_and_b32_e32 v3, v6, v3
	;; [unrolled: 1-line block ×3, first 2 shown]
	v_mbcnt_lo_u32_b32 v6, v3, 0
	v_mbcnt_hi_u32_b32 v38, v4, v6
	v_cmp_ne_u64_e32 vcc, 0, v[3:4]
	v_cmp_eq_u32_e64 s[36:37], 0, v38
	s_and_b64 s[46:47], vcc, s[36:37]
	v_add_u32_e32 v39, v32, v5
	s_waitcnt lgkmcnt(0)
	s_barrier
	; wave barrier
	s_and_saveexec_b64 s[36:37], s[46:47]
; %bb.4:                                ;   in Loop: Header=BB13_3 Depth=1
	v_bcnt_u32_b32 v3, v3, 0
	v_bcnt_u32_b32 v3, v4, v3
	ds_write_b32 v39, v3 offset:8
; %bb.5:                                ;   in Loop: Header=BB13_3 Depth=1
	s_or_b64 exec, exec, s[36:37]
	v_lshrrev_b32_e32 v3, s38, v36
	v_and_b32_e32 v3, s44, v3
	v_lshlrev_b32_e32 v4, 3, v3
	v_add_u32_e32 v41, v32, v4
	v_and_b32_e32 v4, 1, v3
	v_add_co_u32_e32 v5, vcc, -1, v4
	v_addc_co_u32_e64 v6, s[36:37], 0, -1, vcc
	v_cmp_ne_u32_e32 vcc, 0, v4
	v_lshlrev_b32_e32 v10, 30, v3
	v_xor_b32_e32 v4, vcc_hi, v6
	v_xor_b32_e32 v5, vcc_lo, v5
	v_cmp_gt_i64_e32 vcc, 0, v[9:10]
	v_not_b32_e32 v6, v10
	v_ashrrev_i32_e32 v6, 31, v6
	v_and_b32_e32 v4, exec_hi, v4
	v_xor_b32_e32 v10, vcc_hi, v6
	v_and_b32_e32 v5, exec_lo, v5
	v_xor_b32_e32 v6, vcc_lo, v6
	v_and_b32_e32 v4, v4, v10
	v_lshlrev_b32_e32 v10, 29, v3
	v_and_b32_e32 v5, v5, v6
	v_cmp_gt_i64_e32 vcc, 0, v[9:10]
	v_not_b32_e32 v6, v10
	v_ashrrev_i32_e32 v6, 31, v6
	v_xor_b32_e32 v10, vcc_hi, v6
	v_xor_b32_e32 v6, vcc_lo, v6
	v_and_b32_e32 v4, v4, v10
	v_lshlrev_b32_e32 v10, 28, v3
	v_and_b32_e32 v5, v5, v6
	v_cmp_gt_i64_e32 vcc, 0, v[9:10]
	v_not_b32_e32 v6, v10
	v_ashrrev_i32_e32 v6, 31, v6
	v_xor_b32_e32 v10, vcc_hi, v6
	;; [unrolled: 8-line block ×5, first 2 shown]
	v_and_b32_e32 v4, v4, v10
	v_lshlrev_b32_e32 v10, 24, v3
	v_xor_b32_e32 v6, vcc_lo, v6
	v_cmp_gt_i64_e32 vcc, 0, v[9:10]
	v_not_b32_e32 v3, v10
	v_ashrrev_i32_e32 v3, 31, v3
	v_and_b32_e32 v5, v5, v6
	v_xor_b32_e32 v6, vcc_hi, v3
	v_xor_b32_e32 v3, vcc_lo, v3
	; wave barrier
	ds_read_b32 v40, v41 offset:8
	v_and_b32_e32 v3, v5, v3
	v_and_b32_e32 v4, v4, v6
	v_mbcnt_lo_u32_b32 v5, v3, 0
	v_mbcnt_hi_u32_b32 v42, v4, v5
	v_cmp_ne_u64_e32 vcc, 0, v[3:4]
	v_cmp_eq_u32_e64 s[36:37], 0, v42
	s_and_b64 s[46:47], vcc, s[36:37]
	; wave barrier
	s_and_saveexec_b64 s[36:37], s[46:47]
	s_cbranch_execz .LBB13_7
; %bb.6:                                ;   in Loop: Header=BB13_3 Depth=1
	v_bcnt_u32_b32 v3, v3, 0
	v_bcnt_u32_b32 v3, v4, v3
	s_waitcnt lgkmcnt(0)
	v_add_u32_e32 v3, v40, v3
	ds_write_b32 v41, v3 offset:8
.LBB13_7:                               ;   in Loop: Header=BB13_3 Depth=1
	s_or_b64 exec, exec, s[36:37]
	v_lshrrev_b32_e32 v3, s38, v35
	v_and_b32_e32 v3, s44, v3
	v_lshlrev_b32_e32 v4, 3, v3
	v_add_u32_e32 v44, v32, v4
	v_and_b32_e32 v4, 1, v3
	v_add_co_u32_e32 v5, vcc, -1, v4
	v_addc_co_u32_e64 v6, s[36:37], 0, -1, vcc
	v_cmp_ne_u32_e32 vcc, 0, v4
	v_lshlrev_b32_e32 v10, 30, v3
	v_xor_b32_e32 v4, vcc_hi, v6
	v_xor_b32_e32 v5, vcc_lo, v5
	v_cmp_gt_i64_e32 vcc, 0, v[9:10]
	v_not_b32_e32 v6, v10
	v_ashrrev_i32_e32 v6, 31, v6
	v_and_b32_e32 v4, exec_hi, v4
	v_xor_b32_e32 v10, vcc_hi, v6
	v_and_b32_e32 v5, exec_lo, v5
	v_xor_b32_e32 v6, vcc_lo, v6
	v_and_b32_e32 v4, v4, v10
	v_lshlrev_b32_e32 v10, 29, v3
	v_and_b32_e32 v5, v5, v6
	v_cmp_gt_i64_e32 vcc, 0, v[9:10]
	v_not_b32_e32 v6, v10
	v_ashrrev_i32_e32 v6, 31, v6
	v_xor_b32_e32 v10, vcc_hi, v6
	v_xor_b32_e32 v6, vcc_lo, v6
	v_and_b32_e32 v4, v4, v10
	v_lshlrev_b32_e32 v10, 28, v3
	v_and_b32_e32 v5, v5, v6
	v_cmp_gt_i64_e32 vcc, 0, v[9:10]
	v_not_b32_e32 v6, v10
	v_ashrrev_i32_e32 v6, 31, v6
	v_xor_b32_e32 v10, vcc_hi, v6
	;; [unrolled: 8-line block ×5, first 2 shown]
	v_and_b32_e32 v4, v4, v10
	v_lshlrev_b32_e32 v10, 24, v3
	v_xor_b32_e32 v6, vcc_lo, v6
	v_cmp_gt_i64_e32 vcc, 0, v[9:10]
	v_not_b32_e32 v3, v10
	v_ashrrev_i32_e32 v3, 31, v3
	v_and_b32_e32 v5, v5, v6
	v_xor_b32_e32 v6, vcc_hi, v3
	v_xor_b32_e32 v3, vcc_lo, v3
	; wave barrier
	ds_read_b32 v43, v44 offset:8
	v_and_b32_e32 v3, v5, v3
	v_and_b32_e32 v4, v4, v6
	v_mbcnt_lo_u32_b32 v5, v3, 0
	v_mbcnt_hi_u32_b32 v45, v4, v5
	v_cmp_ne_u64_e32 vcc, 0, v[3:4]
	v_cmp_eq_u32_e64 s[36:37], 0, v45
	s_and_b64 s[46:47], vcc, s[36:37]
	; wave barrier
	s_and_saveexec_b64 s[36:37], s[46:47]
	s_cbranch_execz .LBB13_9
; %bb.8:                                ;   in Loop: Header=BB13_3 Depth=1
	v_bcnt_u32_b32 v3, v3, 0
	v_bcnt_u32_b32 v3, v4, v3
	s_waitcnt lgkmcnt(0)
	v_add_u32_e32 v3, v43, v3
	ds_write_b32 v44, v3 offset:8
.LBB13_9:                               ;   in Loop: Header=BB13_3 Depth=1
	s_or_b64 exec, exec, s[36:37]
	v_lshrrev_b32_e32 v3, s38, v34
	v_and_b32_e32 v3, s44, v3
	v_lshlrev_b32_e32 v4, 3, v3
	v_add_u32_e32 v47, v32, v4
	v_and_b32_e32 v4, 1, v3
	v_add_co_u32_e32 v5, vcc, -1, v4
	v_addc_co_u32_e64 v6, s[36:37], 0, -1, vcc
	v_cmp_ne_u32_e32 vcc, 0, v4
	v_lshlrev_b32_e32 v10, 30, v3
	v_xor_b32_e32 v4, vcc_hi, v6
	v_xor_b32_e32 v5, vcc_lo, v5
	v_cmp_gt_i64_e32 vcc, 0, v[9:10]
	v_not_b32_e32 v6, v10
	v_ashrrev_i32_e32 v6, 31, v6
	v_and_b32_e32 v4, exec_hi, v4
	v_xor_b32_e32 v10, vcc_hi, v6
	v_and_b32_e32 v5, exec_lo, v5
	v_xor_b32_e32 v6, vcc_lo, v6
	v_and_b32_e32 v4, v4, v10
	v_lshlrev_b32_e32 v10, 29, v3
	v_and_b32_e32 v5, v5, v6
	v_cmp_gt_i64_e32 vcc, 0, v[9:10]
	v_not_b32_e32 v6, v10
	v_ashrrev_i32_e32 v6, 31, v6
	v_xor_b32_e32 v10, vcc_hi, v6
	v_xor_b32_e32 v6, vcc_lo, v6
	v_and_b32_e32 v4, v4, v10
	v_lshlrev_b32_e32 v10, 28, v3
	v_and_b32_e32 v5, v5, v6
	v_cmp_gt_i64_e32 vcc, 0, v[9:10]
	v_not_b32_e32 v6, v10
	v_ashrrev_i32_e32 v6, 31, v6
	v_xor_b32_e32 v10, vcc_hi, v6
	;; [unrolled: 8-line block ×5, first 2 shown]
	v_and_b32_e32 v4, v4, v10
	v_lshlrev_b32_e32 v10, 24, v3
	v_xor_b32_e32 v6, vcc_lo, v6
	v_cmp_gt_i64_e32 vcc, 0, v[9:10]
	v_not_b32_e32 v3, v10
	v_ashrrev_i32_e32 v3, 31, v3
	v_and_b32_e32 v5, v5, v6
	v_xor_b32_e32 v6, vcc_hi, v3
	v_xor_b32_e32 v3, vcc_lo, v3
	; wave barrier
	ds_read_b32 v46, v47 offset:8
	v_and_b32_e32 v3, v5, v3
	v_and_b32_e32 v4, v4, v6
	v_mbcnt_lo_u32_b32 v5, v3, 0
	v_mbcnt_hi_u32_b32 v10, v4, v5
	v_cmp_ne_u64_e32 vcc, 0, v[3:4]
	v_cmp_eq_u32_e64 s[36:37], 0, v10
	s_and_b64 s[44:45], vcc, s[36:37]
	; wave barrier
	s_and_saveexec_b64 s[36:37], s[44:45]
	s_cbranch_execz .LBB13_11
; %bb.10:                               ;   in Loop: Header=BB13_3 Depth=1
	v_bcnt_u32_b32 v3, v3, 0
	v_bcnt_u32_b32 v3, v4, v3
	s_waitcnt lgkmcnt(0)
	v_add_u32_e32 v3, v46, v3
	ds_write_b32 v47, v3 offset:8
.LBB13_11:                              ;   in Loop: Header=BB13_3 Depth=1
	s_or_b64 exec, exec, s[36:37]
	; wave barrier
	s_waitcnt lgkmcnt(0)
	s_barrier
	ds_read2_b64 v[3:6], v15 offset0:1 offset1:2
	s_waitcnt lgkmcnt(0)
	v_add_u32_e32 v48, v4, v3
	v_add3_u32 v6, v48, v5, v6
	s_nop 1
	v_mov_b32_dpp v48, v6 row_shr:1 row_mask:0xf bank_mask:0xf
	v_cndmask_b32_e64 v48, v48, 0, s[18:19]
	v_add_u32_e32 v6, v48, v6
	s_nop 1
	v_mov_b32_dpp v48, v6 row_shr:2 row_mask:0xf bank_mask:0xf
	v_cndmask_b32_e64 v48, 0, v48, s[20:21]
	v_add_u32_e32 v6, v6, v48
	;; [unrolled: 4-line block ×4, first 2 shown]
	s_nop 1
	v_mov_b32_dpp v48, v6 row_bcast:15 row_mask:0xf bank_mask:0xf
	v_cndmask_b32_e64 v48, v48, 0, s[26:27]
	v_add_u32_e32 v6, v6, v48
	s_nop 1
	v_mov_b32_dpp v48, v6 row_bcast:31 row_mask:0xf bank_mask:0xf
	v_cndmask_b32_e64 v48, 0, v48, s[16:17]
	v_add_u32_e32 v6, v6, v48
	s_and_saveexec_b64 s[36:37], s[28:29]
; %bb.12:                               ;   in Loop: Header=BB13_3 Depth=1
	ds_write_b32 v29, v6
; %bb.13:                               ;   in Loop: Header=BB13_3 Depth=1
	s_or_b64 exec, exec, s[36:37]
	s_waitcnt lgkmcnt(0)
	s_barrier
	s_and_saveexec_b64 s[36:37], s[10:11]
	s_cbranch_execz .LBB13_15
; %bb.14:                               ;   in Loop: Header=BB13_3 Depth=1
	ds_read_b32 v48, v33
	s_waitcnt lgkmcnt(0)
	s_nop 0
	v_mov_b32_dpp v49, v48 row_shr:1 row_mask:0xf bank_mask:0xf
	v_cndmask_b32_e64 v49, v49, 0, s[34:35]
	v_add_u32_e32 v48, v49, v48
	ds_write_b32 v33, v48
.LBB13_15:                              ;   in Loop: Header=BB13_3 Depth=1
	s_or_b64 exec, exec, s[36:37]
	v_mov_b32_e32 v48, 0
	s_waitcnt lgkmcnt(0)
	s_barrier
	s_and_saveexec_b64 s[36:37], s[12:13]
; %bb.16:                               ;   in Loop: Header=BB13_3 Depth=1
	ds_read_b32 v48, v30
; %bb.17:                               ;   in Loop: Header=BB13_3 Depth=1
	s_or_b64 exec, exec, s[36:37]
	s_waitcnt lgkmcnt(0)
	v_add_u32_e32 v6, v48, v6
	ds_bpermute_b32 v6, v28, v6
	v_lshlrev_b32_e32 v38, 2, v38
	s_add_i32 s38, s38, 8
	s_cmp_ge_u32 s38, s39
	s_mov_b64 s[36:37], -1
	s_waitcnt lgkmcnt(0)
	v_cndmask_b32_e64 v6, v6, v48, s[30:31]
	v_cndmask_b32_e64 v48, v6, 0, s[14:15]
	v_add_u32_e32 v49, v48, v3
	v_add_u32_e32 v3, v49, v4
	;; [unrolled: 1-line block ×3, first 2 shown]
	ds_write2_b64 v15, v[48:49], v[3:4] offset0:1 offset1:2
	s_waitcnt lgkmcnt(0)
	s_barrier
	ds_read_b32 v3, v39 offset:8
	ds_read_b32 v4, v41 offset:8
	;; [unrolled: 1-line block ×4, first 2 shown]
	v_lshlrev_b32_e32 v39, 2, v40
	s_waitcnt lgkmcnt(3)
	v_lshl_add_u32 v38, v3, 2, v38
	v_lshlrev_b32_e32 v3, 2, v42
	s_waitcnt lgkmcnt(2)
	v_lshlrev_b32_e32 v4, 2, v4
	v_add3_u32 v39, v3, v39, v4
	v_lshlrev_b32_e32 v3, 2, v45
	v_lshlrev_b32_e32 v4, 2, v43
	s_waitcnt lgkmcnt(1)
	v_lshlrev_b32_e32 v5, 2, v5
	v_add3_u32 v40, v3, v4, v5
	v_lshlrev_b32_e32 v3, 2, v10
	v_lshlrev_b32_e32 v4, 2, v46
	s_waitcnt lgkmcnt(0)
	v_lshlrev_b32_e32 v5, 2, v6
	v_add3_u32 v10, v3, v4, v5
	v_readfirstlane_b32 s44, v0
                                        ; implicit-def: $vgpr6
                                        ; implicit-def: $vgpr4
	s_cbranch_scc1 .LBB13_2
; %bb.18:                               ;   in Loop: Header=BB13_3 Depth=1
	s_barrier
	ds_write_b32 v38, v37
	ds_write_b32 v39, v36
	;; [unrolled: 1-line block ×4, first 2 shown]
	s_waitcnt lgkmcnt(0)
	s_barrier
	ds_read2st64_b32 v[3:4], v31 offset1:1
	ds_read2st64_b32 v[5:6], v31 offset0:2 offset1:3
	s_add_i32 s44, s33, -8
	s_mov_b64 s[36:37], 0
	s_waitcnt lgkmcnt(0)
	s_barrier
	s_branch .LBB13_2
.LBB13_19:
	s_mov_b64 s[18:19], 0
	s_barrier
	ds_write_b32 v38, v37
	ds_write_b32 v39, v36
	;; [unrolled: 1-line block ×4, first 2 shown]
	s_waitcnt lgkmcnt(0)
	s_barrier
.LBB13_20:
	s_and_b64 vcc, exec, s[18:19]
	s_cbranch_vccz .LBB13_40
; %bb.21:
	ds_bpermute_b32 v3, v13, v26
	ds_bpermute_b32 v4, v13, v25
	;; [unrolled: 1-line block ×5, first 2 shown]
	s_waitcnt lgkmcnt(4)
	v_cndmask_b32_e64 v3, 0, v3, s[8:9]
	s_waitcnt lgkmcnt(3)
	v_cndmask_b32_e64 v3, v3, v4, s[6:7]
	ds_bpermute_b32 v4, v27, v26
	ds_bpermute_b32 v10, v27, v24
	s_waitcnt lgkmcnt(4)
	v_cndmask_b32_e64 v3, v3, v5, s[2:3]
	s_waitcnt lgkmcnt(3)
	v_cndmask_b32_e64 v5, v3, v6, s[0:1]
	v_xor_b32_e32 v6, 0x80, v13
	s_waitcnt lgkmcnt(1)
	v_cndmask_b32_e64 v3, 0, v4, s[8:9]
	v_cndmask_b32_e64 v3, v3, v9, s[6:7]
	ds_bpermute_b32 v4, v27, v23
	ds_bpermute_b32 v9, v6, v26
	s_waitcnt lgkmcnt(2)
	v_cndmask_b32_e64 v3, v3, v10, s[2:3]
	ds_bpermute_b32 v10, v6, v25
	ds_bpermute_b32 v13, v6, v24
	;; [unrolled: 1-line block ×3, first 2 shown]
	s_waitcnt lgkmcnt(4)
	v_cndmask_b32_e64 v6, v3, v4, s[0:1]
	s_waitcnt lgkmcnt(3)
	v_cndmask_b32_e64 v3, 0, v9, s[8:9]
	;; [unrolled: 2-line block ×5, first 2 shown]
	v_and_or_b32 v3, v14, 63, v19
	v_lshlrev_b32_e32 v3, 2, v3
	ds_bpermute_b32 v4, v3, v26
	ds_bpermute_b32 v9, v3, v25
	;; [unrolled: 1-line block ×4, first 2 shown]
	s_waitcnt lgkmcnt(0)
	s_barrier
	s_load_dword s4, s[4:5], 0x1c
	v_cndmask_b32_e64 v4, 0, v4, s[8:9]
	v_cndmask_b32_e64 v4, v4, v9, s[6:7]
	;; [unrolled: 1-line block ×4, first 2 shown]
	s_waitcnt lgkmcnt(0)
	s_lshr_b32 s0, s4, 16
	s_mov_b32 s24, 0
	s_and_b32 s1, s4, 0xffff
	v_mad_u32_u24 v1, v2, s0, v1
	v_subrev_co_u32_e64 v2, s[18:19], 1, v12
	s_movk_i32 s25, 0x100
	v_mad_u32_u24 v1, v1, s1, v0
	v_cmp_eq_u32_e64 s[12:13], v0, v18
	v_cmp_gt_u32_e64 s[14:15], 2, v0
	v_cmp_lt_u32_e64 s[16:17], 63, v0
	v_cmp_lt_i32_e32 vcc, v2, v19
	v_cmp_eq_u32_e64 s[20:21], 0, v0
	v_and_or_b32 v0, v11, s25, v12
	s_mov_b32 s26, s24
	v_cmp_lt_u32_e64 s[10:11], 31, v12
	v_cndmask_b32_e32 v2, v2, v12, vcc
	v_and_b32_e32 v17, 4, v17
	v_cmp_eq_u32_e64 s[22:23], 0, v20
	v_lshlrev_b32_e32 v20, 2, v0
	v_lshrrev_b32_e32 v0, 4, v1
	s_mov_b32 s25, s24
	s_mov_b32 s27, s24
	v_mov_b32_e32 v9, s24
	v_mov_b32_e32 v11, s26
	v_cmp_eq_u32_e64 s[0:1], 0, v21
	v_cmp_lt_u32_e64 s[2:3], 1, v21
	v_cmp_lt_u32_e64 s[4:5], 3, v21
	;; [unrolled: 1-line block ×3, first 2 shown]
	v_cmp_eq_u32_e64 s[8:9], 0, v22
	v_lshlrev_b32_e32 v18, 2, v2
	v_add_u32_e32 v19, -4, v17
	v_and_b32_e32 v21, 0xffffffc, v0
	v_mov_b32_e32 v4, 0
	v_mov_b32_e32 v10, s25
	;; [unrolled: 1-line block ×3, first 2 shown]
	v_add_u32_e32 v22, v15, v16
	v_mov_b32_e32 v24, 3
	v_mov_b32_e32 v25, 0
	s_branch .LBB13_23
.LBB13_22:                              ;   in Loop: Header=BB13_23 Depth=1
	s_andn2_b64 vcc, exec, s[24:25]
	s_cbranch_vccz .LBB13_39
.LBB13_23:                              ; =>This Inner Loop Header: Depth=1
	v_mov_b32_e32 v27, v5
	v_lshrrev_b32_e32 v0, v25, v27
	v_and_b32_e32 v1, 1, v0
	v_add_co_u32_e32 v3, vcc, -1, v1
	v_addc_co_u32_e64 v5, s[24:25], 0, -1, vcc
	v_cmp_ne_u32_e32 vcc, 0, v1
	v_xor_b32_e32 v1, vcc_hi, v5
	v_lshlrev_b32_e32 v5, 30, v0
	v_xor_b32_e32 v3, vcc_lo, v3
	v_cmp_gt_i64_e32 vcc, 0, v[4:5]
	v_not_b32_e32 v5, v5
	v_ashrrev_i32_e32 v5, 31, v5
	v_mov_b32_e32 v26, v6
	v_and_b32_e32 v3, exec_lo, v3
	v_xor_b32_e32 v6, vcc_hi, v5
	v_xor_b32_e32 v5, vcc_lo, v5
	v_and_b32_e32 v3, v3, v5
	v_lshlrev_b32_e32 v5, 29, v0
	v_cmp_gt_i64_e32 vcc, 0, v[4:5]
	v_not_b32_e32 v5, v5
	v_and_b32_e32 v1, exec_hi, v1
	v_ashrrev_i32_e32 v5, 31, v5
	v_and_b32_e32 v1, v1, v6
	v_xor_b32_e32 v6, vcc_hi, v5
	v_xor_b32_e32 v5, vcc_lo, v5
	v_and_b32_e32 v3, v3, v5
	v_lshlrev_b32_e32 v5, 28, v0
	v_cmp_gt_i64_e32 vcc, 0, v[4:5]
	v_not_b32_e32 v5, v5
	v_ashrrev_i32_e32 v5, 31, v5
	v_and_b32_e32 v1, v1, v6
	v_xor_b32_e32 v6, vcc_hi, v5
	v_xor_b32_e32 v5, vcc_lo, v5
	v_and_b32_e32 v3, v3, v5
	v_lshlrev_b32_e32 v5, 27, v0
	v_cmp_gt_i64_e32 vcc, 0, v[4:5]
	v_not_b32_e32 v5, v5
	;; [unrolled: 8-line block ×4, first 2 shown]
	v_ashrrev_i32_e32 v5, 31, v5
	v_and_b32_e32 v1, v1, v6
	v_xor_b32_e32 v6, vcc_hi, v5
	v_xor_b32_e32 v5, vcc_lo, v5
	v_and_b32_e32 v3, v3, v5
	v_lshlrev_b32_e32 v5, 24, v0
	v_lshlrev_b32_sdwa v2, v24, v0 dst_sel:DWORD dst_unused:UNUSED_PAD src0_sel:DWORD src1_sel:BYTE_0
	v_cmp_gt_i64_e32 vcc, 0, v[4:5]
	v_not_b32_e32 v0, v5
	v_ashrrev_i32_e32 v0, 31, v0
	v_xor_b32_e32 v5, vcc_hi, v0
	v_xor_b32_e32 v0, vcc_lo, v0
	v_and_b32_e32 v1, v1, v6
	v_and_b32_e32 v0, v3, v0
	;; [unrolled: 1-line block ×3, first 2 shown]
	v_mbcnt_lo_u32_b32 v3, v0, 0
	v_mbcnt_hi_u32_b32 v6, v1, v3
	v_cmp_ne_u64_e32 vcc, 0, v[0:1]
	v_cmp_eq_u32_e64 s[24:25], 0, v6
	v_mov_b32_e32 v16, v14
	v_mov_b32_e32 v23, v13
	s_and_b64 s[26:27], vcc, s[24:25]
	v_add_u32_e32 v13, v21, v2
	ds_write2_b64 v15, v[9:10], v[11:12] offset0:1 offset1:2
	s_waitcnt lgkmcnt(0)
	s_barrier
	; wave barrier
	s_and_saveexec_b64 s[24:25], s[26:27]
; %bb.24:                               ;   in Loop: Header=BB13_23 Depth=1
	v_bcnt_u32_b32 v0, v0, 0
	v_bcnt_u32_b32 v0, v1, v0
	ds_write_b32 v13, v0 offset:8
; %bb.25:                               ;   in Loop: Header=BB13_23 Depth=1
	s_or_b64 exec, exec, s[24:25]
	v_lshrrev_b32_e32 v0, v25, v26
	v_lshlrev_b32_sdwa v1, v24, v0 dst_sel:DWORD dst_unused:UNUSED_PAD src0_sel:DWORD src1_sel:BYTE_0
	v_add_u32_e32 v28, v21, v1
	v_and_b32_e32 v1, 1, v0
	v_add_co_u32_e32 v2, vcc, -1, v1
	v_addc_co_u32_e64 v3, s[24:25], 0, -1, vcc
	v_cmp_ne_u32_e32 vcc, 0, v1
	v_lshlrev_b32_e32 v5, 30, v0
	v_xor_b32_e32 v1, vcc_hi, v3
	v_xor_b32_e32 v2, vcc_lo, v2
	v_cmp_gt_i64_e32 vcc, 0, v[4:5]
	v_not_b32_e32 v3, v5
	v_ashrrev_i32_e32 v3, 31, v3
	v_and_b32_e32 v1, exec_hi, v1
	v_xor_b32_e32 v5, vcc_hi, v3
	v_and_b32_e32 v2, exec_lo, v2
	v_xor_b32_e32 v3, vcc_lo, v3
	v_and_b32_e32 v1, v1, v5
	v_lshlrev_b32_e32 v5, 29, v0
	v_and_b32_e32 v2, v2, v3
	v_cmp_gt_i64_e32 vcc, 0, v[4:5]
	v_not_b32_e32 v3, v5
	v_ashrrev_i32_e32 v3, 31, v3
	v_xor_b32_e32 v5, vcc_hi, v3
	v_xor_b32_e32 v3, vcc_lo, v3
	v_and_b32_e32 v1, v1, v5
	v_lshlrev_b32_e32 v5, 28, v0
	v_and_b32_e32 v2, v2, v3
	v_cmp_gt_i64_e32 vcc, 0, v[4:5]
	v_not_b32_e32 v3, v5
	v_ashrrev_i32_e32 v3, 31, v3
	v_xor_b32_e32 v5, vcc_hi, v3
	;; [unrolled: 8-line block ×5, first 2 shown]
	v_and_b32_e32 v1, v1, v5
	v_lshlrev_b32_e32 v5, 24, v0
	v_xor_b32_e32 v3, vcc_lo, v3
	v_cmp_gt_i64_e32 vcc, 0, v[4:5]
	v_not_b32_e32 v0, v5
	v_ashrrev_i32_e32 v0, 31, v0
	v_and_b32_e32 v2, v2, v3
	v_xor_b32_e32 v3, vcc_hi, v0
	v_xor_b32_e32 v0, vcc_lo, v0
	; wave barrier
	ds_read_b32 v14, v28 offset:8
	v_and_b32_e32 v0, v2, v0
	v_and_b32_e32 v1, v1, v3
	v_mbcnt_lo_u32_b32 v2, v0, 0
	v_mbcnt_hi_u32_b32 v29, v1, v2
	v_cmp_ne_u64_e32 vcc, 0, v[0:1]
	v_cmp_eq_u32_e64 s[24:25], 0, v29
	s_and_b64 s[26:27], vcc, s[24:25]
	; wave barrier
	s_and_saveexec_b64 s[24:25], s[26:27]
	s_cbranch_execz .LBB13_27
; %bb.26:                               ;   in Loop: Header=BB13_23 Depth=1
	v_bcnt_u32_b32 v0, v0, 0
	v_bcnt_u32_b32 v0, v1, v0
	s_waitcnt lgkmcnt(0)
	v_add_u32_e32 v0, v14, v0
	ds_write_b32 v28, v0 offset:8
.LBB13_27:                              ;   in Loop: Header=BB13_23 Depth=1
	s_or_b64 exec, exec, s[24:25]
	v_lshrrev_b32_e32 v0, v25, v23
	v_lshlrev_b32_sdwa v1, v24, v0 dst_sel:DWORD dst_unused:UNUSED_PAD src0_sel:DWORD src1_sel:BYTE_0
	v_add_u32_e32 v31, v21, v1
	v_and_b32_e32 v1, 1, v0
	v_add_co_u32_e32 v2, vcc, -1, v1
	v_addc_co_u32_e64 v3, s[24:25], 0, -1, vcc
	v_cmp_ne_u32_e32 vcc, 0, v1
	v_lshlrev_b32_e32 v5, 30, v0
	v_xor_b32_e32 v1, vcc_hi, v3
	v_xor_b32_e32 v2, vcc_lo, v2
	v_cmp_gt_i64_e32 vcc, 0, v[4:5]
	v_not_b32_e32 v3, v5
	v_ashrrev_i32_e32 v3, 31, v3
	v_and_b32_e32 v1, exec_hi, v1
	v_xor_b32_e32 v5, vcc_hi, v3
	v_and_b32_e32 v2, exec_lo, v2
	v_xor_b32_e32 v3, vcc_lo, v3
	v_and_b32_e32 v1, v1, v5
	v_lshlrev_b32_e32 v5, 29, v0
	v_and_b32_e32 v2, v2, v3
	v_cmp_gt_i64_e32 vcc, 0, v[4:5]
	v_not_b32_e32 v3, v5
	v_ashrrev_i32_e32 v3, 31, v3
	v_xor_b32_e32 v5, vcc_hi, v3
	v_xor_b32_e32 v3, vcc_lo, v3
	v_and_b32_e32 v1, v1, v5
	v_lshlrev_b32_e32 v5, 28, v0
	v_and_b32_e32 v2, v2, v3
	v_cmp_gt_i64_e32 vcc, 0, v[4:5]
	v_not_b32_e32 v3, v5
	v_ashrrev_i32_e32 v3, 31, v3
	v_xor_b32_e32 v5, vcc_hi, v3
	;; [unrolled: 8-line block ×5, first 2 shown]
	v_and_b32_e32 v1, v1, v5
	v_lshlrev_b32_e32 v5, 24, v0
	v_xor_b32_e32 v3, vcc_lo, v3
	v_cmp_gt_i64_e32 vcc, 0, v[4:5]
	v_not_b32_e32 v0, v5
	v_ashrrev_i32_e32 v0, 31, v0
	v_and_b32_e32 v2, v2, v3
	v_xor_b32_e32 v3, vcc_hi, v0
	v_xor_b32_e32 v0, vcc_lo, v0
	; wave barrier
	ds_read_b32 v30, v31 offset:8
	v_and_b32_e32 v0, v2, v0
	v_and_b32_e32 v1, v1, v3
	v_mbcnt_lo_u32_b32 v2, v0, 0
	v_mbcnt_hi_u32_b32 v32, v1, v2
	v_cmp_ne_u64_e32 vcc, 0, v[0:1]
	v_cmp_eq_u32_e64 s[24:25], 0, v32
	s_and_b64 s[26:27], vcc, s[24:25]
	; wave barrier
	s_and_saveexec_b64 s[24:25], s[26:27]
	s_cbranch_execz .LBB13_29
; %bb.28:                               ;   in Loop: Header=BB13_23 Depth=1
	v_bcnt_u32_b32 v0, v0, 0
	v_bcnt_u32_b32 v0, v1, v0
	s_waitcnt lgkmcnt(0)
	v_add_u32_e32 v0, v30, v0
	ds_write_b32 v31, v0 offset:8
.LBB13_29:                              ;   in Loop: Header=BB13_23 Depth=1
	s_or_b64 exec, exec, s[24:25]
	v_lshrrev_b32_e32 v0, v25, v16
	v_lshlrev_b32_sdwa v1, v24, v0 dst_sel:DWORD dst_unused:UNUSED_PAD src0_sel:DWORD src1_sel:BYTE_0
	v_add_u32_e32 v34, v21, v1
	v_and_b32_e32 v1, 1, v0
	v_add_co_u32_e32 v2, vcc, -1, v1
	v_addc_co_u32_e64 v3, s[24:25], 0, -1, vcc
	v_cmp_ne_u32_e32 vcc, 0, v1
	v_lshlrev_b32_e32 v5, 30, v0
	v_xor_b32_e32 v1, vcc_hi, v3
	v_xor_b32_e32 v2, vcc_lo, v2
	v_cmp_gt_i64_e32 vcc, 0, v[4:5]
	v_not_b32_e32 v3, v5
	v_ashrrev_i32_e32 v3, 31, v3
	v_and_b32_e32 v1, exec_hi, v1
	v_xor_b32_e32 v5, vcc_hi, v3
	v_and_b32_e32 v2, exec_lo, v2
	v_xor_b32_e32 v3, vcc_lo, v3
	v_and_b32_e32 v1, v1, v5
	v_lshlrev_b32_e32 v5, 29, v0
	v_and_b32_e32 v2, v2, v3
	v_cmp_gt_i64_e32 vcc, 0, v[4:5]
	v_not_b32_e32 v3, v5
	v_ashrrev_i32_e32 v3, 31, v3
	v_xor_b32_e32 v5, vcc_hi, v3
	v_xor_b32_e32 v3, vcc_lo, v3
	v_and_b32_e32 v1, v1, v5
	v_lshlrev_b32_e32 v5, 28, v0
	v_and_b32_e32 v2, v2, v3
	v_cmp_gt_i64_e32 vcc, 0, v[4:5]
	v_not_b32_e32 v3, v5
	v_ashrrev_i32_e32 v3, 31, v3
	v_xor_b32_e32 v5, vcc_hi, v3
	;; [unrolled: 8-line block ×5, first 2 shown]
	v_and_b32_e32 v1, v1, v5
	v_lshlrev_b32_e32 v5, 24, v0
	v_xor_b32_e32 v3, vcc_lo, v3
	v_cmp_gt_i64_e32 vcc, 0, v[4:5]
	v_not_b32_e32 v0, v5
	v_ashrrev_i32_e32 v0, 31, v0
	v_and_b32_e32 v2, v2, v3
	v_xor_b32_e32 v3, vcc_hi, v0
	v_xor_b32_e32 v0, vcc_lo, v0
	; wave barrier
	ds_read_b32 v33, v34 offset:8
	v_and_b32_e32 v0, v2, v0
	v_and_b32_e32 v1, v1, v3
	v_mbcnt_lo_u32_b32 v2, v0, 0
	v_mbcnt_hi_u32_b32 v5, v1, v2
	v_cmp_ne_u64_e32 vcc, 0, v[0:1]
	v_cmp_eq_u32_e64 s[24:25], 0, v5
	s_and_b64 s[26:27], vcc, s[24:25]
	; wave barrier
	s_and_saveexec_b64 s[24:25], s[26:27]
	s_cbranch_execz .LBB13_31
; %bb.30:                               ;   in Loop: Header=BB13_23 Depth=1
	v_bcnt_u32_b32 v0, v0, 0
	v_bcnt_u32_b32 v0, v1, v0
	s_waitcnt lgkmcnt(0)
	v_add_u32_e32 v0, v33, v0
	ds_write_b32 v34, v0 offset:8
.LBB13_31:                              ;   in Loop: Header=BB13_23 Depth=1
	s_or_b64 exec, exec, s[24:25]
	; wave barrier
	s_waitcnt lgkmcnt(0)
	s_barrier
	ds_read2_b64 v[0:3], v15 offset0:1 offset1:2
	s_waitcnt lgkmcnt(0)
	v_add_u32_e32 v35, v1, v0
	v_add3_u32 v3, v35, v2, v3
	s_nop 1
	v_mov_b32_dpp v35, v3 row_shr:1 row_mask:0xf bank_mask:0xf
	v_cndmask_b32_e64 v35, v35, 0, s[0:1]
	v_add_u32_e32 v3, v35, v3
	s_nop 1
	v_mov_b32_dpp v35, v3 row_shr:2 row_mask:0xf bank_mask:0xf
	v_cndmask_b32_e64 v35, 0, v35, s[2:3]
	v_add_u32_e32 v3, v3, v35
	;; [unrolled: 4-line block ×4, first 2 shown]
	s_nop 1
	v_mov_b32_dpp v35, v3 row_bcast:15 row_mask:0xf bank_mask:0xf
	v_cndmask_b32_e64 v35, v35, 0, s[8:9]
	v_add_u32_e32 v3, v3, v35
	s_nop 1
	v_mov_b32_dpp v35, v3 row_bcast:31 row_mask:0xf bank_mask:0xf
	v_cndmask_b32_e64 v35, 0, v35, s[10:11]
	v_add_u32_e32 v3, v3, v35
	s_and_saveexec_b64 s[24:25], s[12:13]
; %bb.32:                               ;   in Loop: Header=BB13_23 Depth=1
	ds_write_b32 v17, v3
; %bb.33:                               ;   in Loop: Header=BB13_23 Depth=1
	s_or_b64 exec, exec, s[24:25]
	s_waitcnt lgkmcnt(0)
	s_barrier
	s_and_saveexec_b64 s[24:25], s[14:15]
	s_cbranch_execz .LBB13_35
; %bb.34:                               ;   in Loop: Header=BB13_23 Depth=1
	ds_read_b32 v35, v22
	s_waitcnt lgkmcnt(0)
	s_nop 0
	v_mov_b32_dpp v36, v35 row_shr:1 row_mask:0xf bank_mask:0xf
	v_cndmask_b32_e64 v36, v36, 0, s[22:23]
	v_add_u32_e32 v35, v36, v35
	ds_write_b32 v22, v35
.LBB13_35:                              ;   in Loop: Header=BB13_23 Depth=1
	s_or_b64 exec, exec, s[24:25]
	v_mov_b32_e32 v35, 0
	s_waitcnt lgkmcnt(0)
	s_barrier
	s_and_saveexec_b64 s[24:25], s[16:17]
; %bb.36:                               ;   in Loop: Header=BB13_23 Depth=1
	ds_read_b32 v35, v19
; %bb.37:                               ;   in Loop: Header=BB13_23 Depth=1
	s_or_b64 exec, exec, s[24:25]
	s_waitcnt lgkmcnt(0)
	v_add_u32_e32 v3, v35, v3
	ds_bpermute_b32 v3, v18, v3
	v_cmp_lt_u32_e32 vcc, 23, v25
	s_and_b64 vcc, exec, vcc
	s_mov_b64 s[24:25], -1
	s_waitcnt lgkmcnt(0)
	v_cndmask_b32_e64 v3, v3, v35, s[18:19]
	v_cndmask_b32_e64 v35, v3, 0, s[20:21]
	v_add_u32_e32 v36, v35, v0
	v_add_u32_e32 v0, v36, v1
	;; [unrolled: 1-line block ×3, first 2 shown]
	ds_write2_b64 v15, v[35:36], v[0:1] offset0:1 offset1:2
	s_waitcnt lgkmcnt(0)
	s_barrier
	ds_read_b32 v0, v13 offset:8
	ds_read_b32 v1, v28 offset:8
	;; [unrolled: 1-line block ×4, first 2 shown]
	s_waitcnt lgkmcnt(3)
	v_add_u32_e32 v3, v0, v6
	s_waitcnt lgkmcnt(2)
	v_add3_u32 v2, v29, v14, v1
	s_waitcnt lgkmcnt(1)
	v_add3_u32 v1, v32, v30, v13
	;; [unrolled: 2-line block ×3, first 2 shown]
                                        ; implicit-def: $vgpr14
                                        ; implicit-def: $vgpr6
	s_cbranch_vccnz .LBB13_22
; %bb.38:                               ;   in Loop: Header=BB13_23 Depth=1
	v_lshlrev_b32_e32 v5, 2, v3
	s_barrier
	ds_write_b32 v5, v27
	v_lshlrev_b32_e32 v5, 2, v2
	ds_write_b32 v5, v26
	v_lshlrev_b32_e32 v5, 2, v1
	;; [unrolled: 2-line block ×3, first 2 shown]
	ds_write_b32 v5, v16
	s_waitcnt lgkmcnt(0)
	s_barrier
	ds_read2st64_b32 v[5:6], v20 offset1:1
	ds_read2st64_b32 v[13:14], v20 offset0:2 offset1:3
	v_add_u32_e32 v25, 8, v25
	s_mov_b64 s[24:25], 0
	s_waitcnt lgkmcnt(0)
	s_barrier
	s_branch .LBB13_22
.LBB13_39:
	v_lshlrev_b32_e32 v3, 2, v3
	v_lshlrev_b32_e32 v2, 2, v2
	;; [unrolled: 1-line block ×4, first 2 shown]
	s_barrier
	ds_write_b32 v3, v27
	ds_write_b32 v2, v26
	;; [unrolled: 1-line block ×4, first 2 shown]
	s_waitcnt lgkmcnt(0)
	s_barrier
.LBB13_40:
	ds_read2_b64 v[0:3], v15 offset1:1
	s_waitcnt lgkmcnt(0)
	v_xor_b32_e32 v0, 0x80000000, v0
	v_xor_b32_e32 v1, 0x80000000, v1
	;; [unrolled: 1-line block ×4, first 2 shown]
	global_store_dwordx4 v[7:8], v[0:3], off
	s_endpgm
	.section	.rodata,"a",@progbits
	.p2align	6, 0x0
	.amdhsa_kernel _Z15sort_key_kernelILj128ELj4ELb0ELb0EiEvPT3_jj
		.amdhsa_group_segment_fixed_size 2064
		.amdhsa_private_segment_fixed_size 0
		.amdhsa_kernarg_size 272
		.amdhsa_user_sgpr_count 6
		.amdhsa_user_sgpr_private_segment_buffer 1
		.amdhsa_user_sgpr_dispatch_ptr 0
		.amdhsa_user_sgpr_queue_ptr 0
		.amdhsa_user_sgpr_kernarg_segment_ptr 1
		.amdhsa_user_sgpr_dispatch_id 0
		.amdhsa_user_sgpr_flat_scratch_init 0
		.amdhsa_user_sgpr_private_segment_size 0
		.amdhsa_uses_dynamic_stack 0
		.amdhsa_system_sgpr_private_segment_wavefront_offset 0
		.amdhsa_system_sgpr_workgroup_id_x 1
		.amdhsa_system_sgpr_workgroup_id_y 0
		.amdhsa_system_sgpr_workgroup_id_z 0
		.amdhsa_system_sgpr_workgroup_info 0
		.amdhsa_system_vgpr_workitem_id 2
		.amdhsa_next_free_vgpr 50
		.amdhsa_next_free_sgpr 61
		.amdhsa_reserve_vcc 1
		.amdhsa_reserve_flat_scratch 0
		.amdhsa_float_round_mode_32 0
		.amdhsa_float_round_mode_16_64 0
		.amdhsa_float_denorm_mode_32 3
		.amdhsa_float_denorm_mode_16_64 3
		.amdhsa_dx10_clamp 1
		.amdhsa_ieee_mode 1
		.amdhsa_fp16_overflow 0
		.amdhsa_exception_fp_ieee_invalid_op 0
		.amdhsa_exception_fp_denorm_src 0
		.amdhsa_exception_fp_ieee_div_zero 0
		.amdhsa_exception_fp_ieee_overflow 0
		.amdhsa_exception_fp_ieee_underflow 0
		.amdhsa_exception_fp_ieee_inexact 0
		.amdhsa_exception_int_div_zero 0
	.end_amdhsa_kernel
	.section	.text._Z15sort_key_kernelILj128ELj4ELb0ELb0EiEvPT3_jj,"axG",@progbits,_Z15sort_key_kernelILj128ELj4ELb0ELb0EiEvPT3_jj,comdat
.Lfunc_end13:
	.size	_Z15sort_key_kernelILj128ELj4ELb0ELb0EiEvPT3_jj, .Lfunc_end13-_Z15sort_key_kernelILj128ELj4ELb0ELb0EiEvPT3_jj
                                        ; -- End function
	.set _Z15sort_key_kernelILj128ELj4ELb0ELb0EiEvPT3_jj.num_vgpr, 50
	.set _Z15sort_key_kernelILj128ELj4ELb0ELb0EiEvPT3_jj.num_agpr, 0
	.set _Z15sort_key_kernelILj128ELj4ELb0ELb0EiEvPT3_jj.numbered_sgpr, 48
	.set _Z15sort_key_kernelILj128ELj4ELb0ELb0EiEvPT3_jj.num_named_barrier, 0
	.set _Z15sort_key_kernelILj128ELj4ELb0ELb0EiEvPT3_jj.private_seg_size, 0
	.set _Z15sort_key_kernelILj128ELj4ELb0ELb0EiEvPT3_jj.uses_vcc, 1
	.set _Z15sort_key_kernelILj128ELj4ELb0ELb0EiEvPT3_jj.uses_flat_scratch, 0
	.set _Z15sort_key_kernelILj128ELj4ELb0ELb0EiEvPT3_jj.has_dyn_sized_stack, 0
	.set _Z15sort_key_kernelILj128ELj4ELb0ELb0EiEvPT3_jj.has_recursion, 0
	.set _Z15sort_key_kernelILj128ELj4ELb0ELb0EiEvPT3_jj.has_indirect_call, 0
	.section	.AMDGPU.csdata,"",@progbits
; Kernel info:
; codeLenInByte = 5572
; TotalNumSgprs: 52
; NumVgprs: 50
; ScratchSize: 0
; MemoryBound: 0
; FloatMode: 240
; IeeeMode: 1
; LDSByteSize: 2064 bytes/workgroup (compile time only)
; SGPRBlocks: 8
; VGPRBlocks: 12
; NumSGPRsForWavesPerEU: 65
; NumVGPRsForWavesPerEU: 50
; Occupancy: 4
; WaveLimiterHint : 0
; COMPUTE_PGM_RSRC2:SCRATCH_EN: 0
; COMPUTE_PGM_RSRC2:USER_SGPR: 6
; COMPUTE_PGM_RSRC2:TRAP_HANDLER: 0
; COMPUTE_PGM_RSRC2:TGID_X_EN: 1
; COMPUTE_PGM_RSRC2:TGID_Y_EN: 0
; COMPUTE_PGM_RSRC2:TGID_Z_EN: 0
; COMPUTE_PGM_RSRC2:TIDIG_COMP_CNT: 2
	.section	.text._Z15sort_key_kernelILj64ELj2ELb0ELb1EfEvPT3_jj,"axG",@progbits,_Z15sort_key_kernelILj64ELj2ELb0ELb1EfEvPT3_jj,comdat
	.protected	_Z15sort_key_kernelILj64ELj2ELb0ELb1EfEvPT3_jj ; -- Begin function _Z15sort_key_kernelILj64ELj2ELb0ELb1EfEvPT3_jj
	.globl	_Z15sort_key_kernelILj64ELj2ELb0ELb1EfEvPT3_jj
	.p2align	8
	.type	_Z15sort_key_kernelILj64ELj2ELb0ELb1EfEvPT3_jj,@function
_Z15sort_key_kernelILj64ELj2ELb0ELb1EfEvPT3_jj: ; @_Z15sort_key_kernelILj64ELj2ELb0ELb1EfEvPT3_jj
; %bb.0:
	s_load_dwordx4 s[20:23], s[4:5], 0x0
	s_lshl_b32 s0, s6, 7
	s_mov_b32 s1, 0
	s_lshl_b64 s[0:1], s[0:1], 2
	v_lshlrev_b32_e32 v3, 3, v0
	s_waitcnt lgkmcnt(0)
	s_add_u32 s8, s20, s0
	s_addc_u32 s9, s21, s1
	global_load_dwordx2 v[6:7], v3, s[8:9]
	v_mbcnt_lo_u32_b32 v4, -1, 0
	v_mbcnt_hi_u32_b32 v12, -1, v4
	v_lshrrev_b32_e32 v4, 1, v12
	v_and_or_b32 v4, v12, 64, v4
	s_cmp_lg_u32 s22, 0
	v_lshlrev_b32_e32 v18, 2, v4
	v_mov_b32_e32 v4, s9
	v_add_co_u32_e32 v3, vcc, s8, v3
	s_cselect_b64 s[8:9], -1, 0
	s_cmp_lg_u32 s23, 32
	s_cselect_b64 s[10:11], -1, 0
	s_or_b64 s[8:9], s[8:9], s[10:11]
	s_add_u32 s20, s4, 16
	v_bfrev_b32_e32 v16, -2
	v_and_b32_e32 v8, 1, v12
	s_addc_u32 s21, s5, 0
	v_cmp_eq_u32_e64 s[0:1], 0, v8
	v_addc_co_u32_e32 v4, vcc, 0, v4, vcc
	v_mov_b32_e32 v5, 0
	s_mov_b64 s[6:7], -1
	v_lshlrev_b32_e32 v10, 4, v0
	v_cmp_eq_u32_e64 s[2:3], 63, v0
	v_cmp_eq_u32_e64 s[16:17], 0, v0
	v_and_b32_e32 v14, 15, v12
	v_and_b32_e32 v15, 16, v12
	v_cmp_lt_u32_e64 s[18:19], 31, v12
	v_and_b32_e32 v13, 64, v12
	v_lshlrev_b32_e32 v11, 2, v12
	v_xor_b32_e32 v17, 0x80, v18
	s_and_b64 vcc, exec, s[8:9]
	s_waitcnt vmcnt(0)
	v_cmp_gt_i32_e64 s[4:5], 0, v6
	v_cndmask_b32_e64 v8, v16, 0, s[4:5]
	v_cmp_gt_i32_e64 s[4:5], 0, v7
	v_cndmask_b32_e64 v9, v16, 0, s[4:5]
	v_xor_b32_e32 v19, v8, v6
	v_xor_b32_e32 v20, v9, v7
	s_cbranch_vccz .LBB14_12
; %bb.1:
	; wave barrier
	s_load_dword s4, s[20:21], 0xc
	ds_bpermute_b32 v6, v18, v19
	ds_bpermute_b32 v7, v18, v20
	;; [unrolled: 1-line block ×4, first 2 shown]
	s_waitcnt lgkmcnt(0)
	s_lshr_b32 s5, s4, 16
	s_and_b32 s4, s4, 0xffff
	v_cndmask_b32_e64 v6, v7, v6, s[0:1]
	v_cmp_eq_u32_e64 s[6:7], 0, v14
	v_cndmask_b32_e64 v7, v9, v8, s[0:1]
	v_mad_u32_u24 v8, v2, s5, v1
	v_subrev_co_u32_e32 v9, vcc, 1, v12
	v_mad_u32_u24 v8, v8, s4, v0
	v_cmp_lt_i32_e64 s[4:5], v9, v13
	v_cndmask_b32_e64 v9, v9, v12, s[4:5]
	v_lshrrev_b32_e32 v8, 4, v8
	v_cmp_lt_u32_e64 s[8:9], 1, v14
	v_cmp_lt_u32_e64 s[10:11], 3, v14
	;; [unrolled: 1-line block ×3, first 2 shown]
	v_cmp_eq_u32_e64 s[14:15], 0, v15
	v_lshlrev_b32_e32 v21, 2, v9
	s_or_b64 s[16:17], s[16:17], vcc
	v_and_b32_e32 v22, 0xffffffc, v8
	s_sub_i32 s24, s23, s22
	s_brev_b32 s25, 1
	s_branch .LBB14_3
.LBB14_2:                               ;   in Loop: Header=BB14_3 Depth=1
	s_andn2_b64 vcc, exec, s[4:5]
	s_cbranch_vccz .LBB14_11
.LBB14_3:                               ; =>This Inner Loop Header: Depth=1
	v_mov_b32_e32 v24, v6
	s_min_u32 s4, s24, 8
	v_cmp_ne_u32_e32 vcc, s25, v24
	s_lshl_b32 s4, -1, s4
	v_cndmask_b32_e32 v6, v16, v24, vcc
	s_not_b32 s26, s4
	v_lshrrev_b32_e32 v6, s22, v6
	v_mov_b32_e32 v23, v7
	v_and_b32_e32 v7, s26, v6
	v_and_b32_e32 v6, 1, v7
	v_add_co_u32_e32 v8, vcc, -1, v6
	v_addc_co_u32_e64 v9, s[4:5], 0, -1, vcc
	v_cmp_ne_u32_e32 vcc, 0, v6
	v_xor_b32_e32 v6, vcc_hi, v9
	v_and_b32_e32 v9, exec_hi, v6
	v_lshlrev_b32_e32 v6, 30, v7
	v_xor_b32_e32 v8, vcc_lo, v8
	v_cmp_gt_i64_e32 vcc, 0, v[5:6]
	v_not_b32_e32 v6, v6
	v_ashrrev_i32_e32 v6, 31, v6
	v_and_b32_e32 v8, exec_lo, v8
	v_xor_b32_e32 v26, vcc_hi, v6
	v_xor_b32_e32 v6, vcc_lo, v6
	v_and_b32_e32 v8, v8, v6
	v_lshlrev_b32_e32 v6, 29, v7
	v_cmp_gt_i64_e32 vcc, 0, v[5:6]
	v_not_b32_e32 v6, v6
	v_ashrrev_i32_e32 v6, 31, v6
	v_and_b32_e32 v9, v9, v26
	v_xor_b32_e32 v26, vcc_hi, v6
	v_xor_b32_e32 v6, vcc_lo, v6
	v_and_b32_e32 v8, v8, v6
	v_lshlrev_b32_e32 v6, 28, v7
	v_cmp_gt_i64_e32 vcc, 0, v[5:6]
	v_not_b32_e32 v6, v6
	v_ashrrev_i32_e32 v6, 31, v6
	v_and_b32_e32 v9, v9, v26
	;; [unrolled: 8-line block ×5, first 2 shown]
	v_xor_b32_e32 v26, vcc_hi, v6
	v_xor_b32_e32 v6, vcc_lo, v6
	v_and_b32_e32 v8, v8, v6
	v_lshlrev_b32_e32 v6, 24, v7
	v_cmp_gt_i64_e32 vcc, 0, v[5:6]
	v_not_b32_e32 v6, v6
	v_ashrrev_i32_e32 v6, 31, v6
	v_lshl_add_u32 v25, v7, 2, v22
	v_xor_b32_e32 v7, vcc_hi, v6
	v_xor_b32_e32 v6, vcc_lo, v6
	v_and_b32_e32 v9, v9, v26
	v_and_b32_e32 v6, v8, v6
	v_and_b32_e32 v7, v9, v7
	v_mbcnt_lo_u32_b32 v8, v6, 0
	v_mbcnt_hi_u32_b32 v26, v7, v8
	v_cmp_ne_u64_e32 vcc, 0, v[6:7]
	v_cmp_eq_u32_e64 s[4:5], 0, v26
	s_and_b64 s[28:29], vcc, s[4:5]
	ds_write2_b32 v10, v5, v5 offset0:1 offset1:2
	ds_write2_b32 v10, v5, v5 offset0:3 offset1:4
	s_waitcnt lgkmcnt(0)
	; wave barrier
	; wave barrier
	s_and_saveexec_b64 s[4:5], s[28:29]
; %bb.4:                                ;   in Loop: Header=BB14_3 Depth=1
	v_bcnt_u32_b32 v6, v6, 0
	v_bcnt_u32_b32 v6, v7, v6
	ds_write_b32 v25, v6 offset:4
; %bb.5:                                ;   in Loop: Header=BB14_3 Depth=1
	s_or_b64 exec, exec, s[4:5]
	v_cmp_ne_u32_e32 vcc, s25, v23
	v_cndmask_b32_e32 v6, v16, v23, vcc
	v_lshrrev_b32_e32 v6, s22, v6
	v_and_b32_e32 v7, s26, v6
	v_and_b32_e32 v6, 1, v7
	v_add_co_u32_e32 v8, vcc, -1, v6
	v_addc_co_u32_e64 v9, s[4:5], 0, -1, vcc
	v_cmp_ne_u32_e32 vcc, 0, v6
	v_xor_b32_e32 v6, vcc_hi, v9
	v_and_b32_e32 v9, exec_hi, v6
	v_lshlrev_b32_e32 v6, 30, v7
	v_xor_b32_e32 v8, vcc_lo, v8
	v_cmp_gt_i64_e32 vcc, 0, v[5:6]
	v_not_b32_e32 v6, v6
	v_ashrrev_i32_e32 v6, 31, v6
	v_and_b32_e32 v8, exec_lo, v8
	v_xor_b32_e32 v29, vcc_hi, v6
	v_xor_b32_e32 v6, vcc_lo, v6
	v_and_b32_e32 v8, v8, v6
	v_lshlrev_b32_e32 v6, 29, v7
	v_cmp_gt_i64_e32 vcc, 0, v[5:6]
	v_not_b32_e32 v6, v6
	v_ashrrev_i32_e32 v6, 31, v6
	v_and_b32_e32 v9, v9, v29
	v_xor_b32_e32 v29, vcc_hi, v6
	v_xor_b32_e32 v6, vcc_lo, v6
	v_and_b32_e32 v8, v8, v6
	v_lshlrev_b32_e32 v6, 28, v7
	v_cmp_gt_i64_e32 vcc, 0, v[5:6]
	v_not_b32_e32 v6, v6
	v_ashrrev_i32_e32 v6, 31, v6
	v_and_b32_e32 v9, v9, v29
	;; [unrolled: 8-line block ×5, first 2 shown]
	v_xor_b32_e32 v29, vcc_hi, v6
	v_xor_b32_e32 v6, vcc_lo, v6
	v_and_b32_e32 v8, v8, v6
	v_lshlrev_b32_e32 v6, 24, v7
	v_cmp_gt_i64_e32 vcc, 0, v[5:6]
	v_not_b32_e32 v6, v6
	v_ashrrev_i32_e32 v6, 31, v6
	v_lshl_add_u32 v28, v7, 2, v22
	v_xor_b32_e32 v7, vcc_hi, v6
	v_xor_b32_e32 v6, vcc_lo, v6
	; wave barrier
	ds_read_b32 v27, v28 offset:4
	v_and_b32_e32 v9, v9, v29
	v_and_b32_e32 v6, v8, v6
	;; [unrolled: 1-line block ×3, first 2 shown]
	v_mbcnt_lo_u32_b32 v8, v6, 0
	v_mbcnt_hi_u32_b32 v29, v7, v8
	v_cmp_ne_u64_e32 vcc, 0, v[6:7]
	v_cmp_eq_u32_e64 s[4:5], 0, v29
	s_and_b64 s[26:27], vcc, s[4:5]
	; wave barrier
	s_and_saveexec_b64 s[4:5], s[26:27]
	s_cbranch_execz .LBB14_7
; %bb.6:                                ;   in Loop: Header=BB14_3 Depth=1
	v_bcnt_u32_b32 v6, v6, 0
	v_bcnt_u32_b32 v6, v7, v6
	s_waitcnt lgkmcnt(0)
	v_add_u32_e32 v6, v27, v6
	ds_write_b32 v28, v6 offset:4
.LBB14_7:                               ;   in Loop: Header=BB14_3 Depth=1
	s_or_b64 exec, exec, s[4:5]
	; wave barrier
	s_waitcnt lgkmcnt(0)
	; wave barrier
	ds_read2_b32 v[8:9], v10 offset0:1 offset1:2
	ds_read2_b32 v[6:7], v10 offset0:3 offset1:4
	s_waitcnt lgkmcnt(1)
	v_add_u32_e32 v30, v9, v8
	s_waitcnt lgkmcnt(0)
	v_add3_u32 v7, v30, v6, v7
	s_nop 1
	v_mov_b32_dpp v30, v7 row_shr:1 row_mask:0xf bank_mask:0xf
	v_cndmask_b32_e64 v30, v30, 0, s[6:7]
	v_add_u32_e32 v7, v30, v7
	s_nop 1
	v_mov_b32_dpp v30, v7 row_shr:2 row_mask:0xf bank_mask:0xf
	v_cndmask_b32_e64 v30, 0, v30, s[8:9]
	v_add_u32_e32 v7, v7, v30
	;; [unrolled: 4-line block ×4, first 2 shown]
	s_nop 1
	v_mov_b32_dpp v30, v7 row_bcast:15 row_mask:0xf bank_mask:0xf
	v_cndmask_b32_e64 v30, v30, 0, s[14:15]
	v_add_u32_e32 v7, v7, v30
	s_nop 1
	v_mov_b32_dpp v30, v7 row_bcast:31 row_mask:0xf bank_mask:0xf
	v_cndmask_b32_e64 v30, 0, v30, s[18:19]
	v_add_u32_e32 v7, v7, v30
	s_and_saveexec_b64 s[4:5], s[2:3]
; %bb.8:                                ;   in Loop: Header=BB14_3 Depth=1
	ds_write_b32 v5, v7
; %bb.9:                                ;   in Loop: Header=BB14_3 Depth=1
	s_or_b64 exec, exec, s[4:5]
	ds_bpermute_b32 v7, v21, v7
	s_waitcnt lgkmcnt(0)
	; wave barrier
	s_add_i32 s22, s22, 8
	s_cmp_ge_u32 s22, s23
	v_cndmask_b32_e64 v7, v7, 0, s[16:17]
	v_add_u32_e32 v8, v7, v8
	v_add_u32_e32 v9, v8, v9
	;; [unrolled: 1-line block ×3, first 2 shown]
	ds_write2_b32 v10, v7, v8 offset0:1 offset1:2
	ds_write2_b32 v10, v9, v6 offset0:3 offset1:4
	s_waitcnt lgkmcnt(0)
	; wave barrier
	ds_read_b32 v6, v25 offset:4
	ds_read_b32 v7, v28 offset:4
	v_lshlrev_b32_e32 v8, 2, v26
	v_lshlrev_b32_e32 v9, 2, v27
	s_mov_b64 s[4:5], -1
	s_waitcnt lgkmcnt(1)
	v_lshl_add_u32 v8, v6, 2, v8
	v_lshlrev_b32_e32 v6, 2, v29
	s_waitcnt lgkmcnt(0)
	v_lshlrev_b32_e32 v7, 2, v7
	v_add3_u32 v9, v6, v9, v7
                                        ; implicit-def: $vgpr7
	s_cbranch_scc1 .LBB14_2
; %bb.10:                               ;   in Loop: Header=BB14_3 Depth=1
	; wave barrier
	ds_write_b32 v8, v24
	ds_write_b32 v9, v23
	s_waitcnt lgkmcnt(0)
	; wave barrier
	ds_read2st64_b32 v[6:7], v11 offset1:1
	s_add_i32 s24, s24, -8
	s_mov_b64 s[4:5], 0
	s_waitcnt lgkmcnt(0)
	; wave barrier
	s_branch .LBB14_2
.LBB14_11:
	s_mov_b64 s[6:7], 0
	; wave barrier
	ds_write_b32 v8, v24
	ds_write_b32 v9, v23
	s_waitcnt lgkmcnt(0)
	; wave barrier
.LBB14_12:
	v_lshlrev_b32_e32 v7, 1, v0
	s_and_b64 vcc, exec, s[6:7]
	s_cbranch_vccz .LBB14_24
; %bb.13:
	ds_bpermute_b32 v5, v18, v19
	ds_bpermute_b32 v6, v18, v20
	;; [unrolled: 1-line block ×4, first 2 shown]
	; wave barrier
	s_waitcnt lgkmcnt(0)
	s_load_dword s2, s[20:21], 0xc
	v_cndmask_b32_e64 v5, v6, v5, s[0:1]
	v_cmp_eq_u32_e64 s[12:13], 63, v0
	v_cndmask_b32_e64 v6, v9, v8, s[0:1]
	s_mov_b32 s18, 0
	s_waitcnt lgkmcnt(0)
	s_lshr_b32 s0, s2, 16
	s_and_b32 s1, s2, 0xffff
	v_mad_u32_u24 v1, v2, s0, v1
	v_subrev_co_u32_e32 v2, vcc, 1, v12
	v_mad_u32_u24 v1, v1, s1, v0
	v_cmp_lt_i32_e64 s[14:15], v2, v13
	v_cndmask_b32_e64 v2, v2, v12, s[14:15]
	v_cmp_eq_u32_e64 s[14:15], 0, v0
	v_lshrrev_b32_e32 v0, 4, v1
	v_cmp_eq_u32_e64 s[0:1], 0, v14
	v_cmp_lt_u32_e64 s[2:3], 1, v14
	v_cmp_lt_u32_e64 s[4:5], 3, v14
	;; [unrolled: 1-line block ×3, first 2 shown]
	v_cmp_eq_u32_e64 s[8:9], 0, v15
	v_cmp_lt_u32_e64 s[10:11], 31, v12
	v_lshlrev_b32_e32 v8, 2, v2
	s_or_b64 s[16:17], s[14:15], vcc
	v_and_b32_e32 v9, 0xffffffc, v0
	v_mov_b32_e32 v0, 0
	s_brev_b32 s19, 1
	v_bfrev_b32_e32 v13, -2
	s_branch .LBB14_15
.LBB14_14:                              ;   in Loop: Header=BB14_15 Depth=1
	s_andn2_b64 vcc, exec, s[14:15]
	s_cbranch_vccz .LBB14_23
.LBB14_15:                              ; =>This Inner Loop Header: Depth=1
	v_mov_b32_e32 v14, v5
	v_cmp_ne_u32_e32 vcc, s19, v14
	v_cndmask_b32_e32 v1, v13, v14, vcc
	v_lshrrev_b32_e32 v2, s18, v1
	v_and_b32_e32 v1, 0xff, v2
	v_lshl_add_u32 v15, v1, 2, v9
	v_and_b32_e32 v1, 1, v2
	v_add_co_u32_e32 v5, vcc, -1, v1
	v_mov_b32_e32 v12, v6
	v_addc_co_u32_e64 v6, s[14:15], 0, -1, vcc
	v_cmp_ne_u32_e32 vcc, 0, v1
	v_xor_b32_e32 v1, vcc_hi, v6
	v_and_b32_e32 v6, exec_hi, v1
	v_lshlrev_b32_e32 v1, 30, v2
	v_xor_b32_e32 v5, vcc_lo, v5
	v_cmp_gt_i64_e32 vcc, 0, v[0:1]
	v_not_b32_e32 v1, v1
	v_ashrrev_i32_e32 v1, 31, v1
	v_and_b32_e32 v5, exec_lo, v5
	v_xor_b32_e32 v16, vcc_hi, v1
	v_xor_b32_e32 v1, vcc_lo, v1
	v_and_b32_e32 v5, v5, v1
	v_lshlrev_b32_e32 v1, 29, v2
	v_cmp_gt_i64_e32 vcc, 0, v[0:1]
	v_not_b32_e32 v1, v1
	v_ashrrev_i32_e32 v1, 31, v1
	v_and_b32_e32 v6, v6, v16
	v_xor_b32_e32 v16, vcc_hi, v1
	v_xor_b32_e32 v1, vcc_lo, v1
	v_and_b32_e32 v5, v5, v1
	v_lshlrev_b32_e32 v1, 28, v2
	v_cmp_gt_i64_e32 vcc, 0, v[0:1]
	v_not_b32_e32 v1, v1
	v_ashrrev_i32_e32 v1, 31, v1
	v_and_b32_e32 v6, v6, v16
	;; [unrolled: 8-line block ×5, first 2 shown]
	v_xor_b32_e32 v16, vcc_hi, v1
	v_xor_b32_e32 v1, vcc_lo, v1
	v_and_b32_e32 v5, v5, v1
	v_lshlrev_b32_e32 v1, 24, v2
	v_cmp_gt_i64_e32 vcc, 0, v[0:1]
	v_not_b32_e32 v1, v1
	v_ashrrev_i32_e32 v1, 31, v1
	v_xor_b32_e32 v2, vcc_hi, v1
	v_xor_b32_e32 v1, vcc_lo, v1
	v_and_b32_e32 v6, v6, v16
	v_and_b32_e32 v1, v5, v1
	;; [unrolled: 1-line block ×3, first 2 shown]
	v_mbcnt_lo_u32_b32 v5, v1, 0
	v_mbcnt_hi_u32_b32 v16, v2, v5
	v_cmp_ne_u64_e32 vcc, 0, v[1:2]
	v_cmp_eq_u32_e64 s[14:15], 0, v16
	s_and_b64 s[20:21], vcc, s[14:15]
	ds_write2_b32 v10, v0, v0 offset0:1 offset1:2
	ds_write2_b32 v10, v0, v0 offset0:3 offset1:4
	s_waitcnt lgkmcnt(0)
	; wave barrier
	; wave barrier
	s_and_saveexec_b64 s[14:15], s[20:21]
; %bb.16:                               ;   in Loop: Header=BB14_15 Depth=1
	v_bcnt_u32_b32 v1, v1, 0
	v_bcnt_u32_b32 v1, v2, v1
	ds_write_b32 v15, v1 offset:4
; %bb.17:                               ;   in Loop: Header=BB14_15 Depth=1
	s_or_b64 exec, exec, s[14:15]
	v_cmp_ne_u32_e32 vcc, s19, v12
	v_cndmask_b32_e32 v1, v13, v12, vcc
	v_lshrrev_b32_e32 v2, s18, v1
	v_and_b32_e32 v1, 0xff, v2
	v_lshl_add_u32 v18, v1, 2, v9
	v_and_b32_e32 v1, 1, v2
	v_add_co_u32_e32 v5, vcc, -1, v1
	v_addc_co_u32_e64 v6, s[14:15], 0, -1, vcc
	v_cmp_ne_u32_e32 vcc, 0, v1
	v_xor_b32_e32 v1, vcc_hi, v6
	v_and_b32_e32 v6, exec_hi, v1
	v_lshlrev_b32_e32 v1, 30, v2
	v_xor_b32_e32 v5, vcc_lo, v5
	v_cmp_gt_i64_e32 vcc, 0, v[0:1]
	v_not_b32_e32 v1, v1
	v_ashrrev_i32_e32 v1, 31, v1
	v_and_b32_e32 v5, exec_lo, v5
	v_xor_b32_e32 v19, vcc_hi, v1
	v_xor_b32_e32 v1, vcc_lo, v1
	v_and_b32_e32 v5, v5, v1
	v_lshlrev_b32_e32 v1, 29, v2
	v_cmp_gt_i64_e32 vcc, 0, v[0:1]
	v_not_b32_e32 v1, v1
	v_ashrrev_i32_e32 v1, 31, v1
	v_and_b32_e32 v6, v6, v19
	v_xor_b32_e32 v19, vcc_hi, v1
	v_xor_b32_e32 v1, vcc_lo, v1
	v_and_b32_e32 v5, v5, v1
	v_lshlrev_b32_e32 v1, 28, v2
	v_cmp_gt_i64_e32 vcc, 0, v[0:1]
	v_not_b32_e32 v1, v1
	v_ashrrev_i32_e32 v1, 31, v1
	v_and_b32_e32 v6, v6, v19
	;; [unrolled: 8-line block ×5, first 2 shown]
	v_xor_b32_e32 v19, vcc_hi, v1
	v_xor_b32_e32 v1, vcc_lo, v1
	v_and_b32_e32 v5, v5, v1
	v_lshlrev_b32_e32 v1, 24, v2
	v_cmp_gt_i64_e32 vcc, 0, v[0:1]
	v_not_b32_e32 v1, v1
	v_ashrrev_i32_e32 v1, 31, v1
	v_xor_b32_e32 v2, vcc_hi, v1
	v_xor_b32_e32 v1, vcc_lo, v1
	; wave barrier
	ds_read_b32 v17, v18 offset:4
	v_and_b32_e32 v6, v6, v19
	v_and_b32_e32 v1, v5, v1
	;; [unrolled: 1-line block ×3, first 2 shown]
	v_mbcnt_lo_u32_b32 v5, v1, 0
	v_mbcnt_hi_u32_b32 v19, v2, v5
	v_cmp_ne_u64_e32 vcc, 0, v[1:2]
	v_cmp_eq_u32_e64 s[14:15], 0, v19
	s_and_b64 s[20:21], vcc, s[14:15]
	; wave barrier
	s_and_saveexec_b64 s[14:15], s[20:21]
	s_cbranch_execz .LBB14_19
; %bb.18:                               ;   in Loop: Header=BB14_15 Depth=1
	v_bcnt_u32_b32 v1, v1, 0
	v_bcnt_u32_b32 v1, v2, v1
	s_waitcnt lgkmcnt(0)
	v_add_u32_e32 v1, v17, v1
	ds_write_b32 v18, v1 offset:4
.LBB14_19:                              ;   in Loop: Header=BB14_15 Depth=1
	s_or_b64 exec, exec, s[14:15]
	; wave barrier
	s_waitcnt lgkmcnt(0)
	; wave barrier
	ds_read2_b32 v[5:6], v10 offset0:1 offset1:2
	ds_read2_b32 v[1:2], v10 offset0:3 offset1:4
	s_waitcnt lgkmcnt(1)
	v_add_u32_e32 v20, v6, v5
	s_waitcnt lgkmcnt(0)
	v_add3_u32 v2, v20, v1, v2
	s_nop 1
	v_mov_b32_dpp v20, v2 row_shr:1 row_mask:0xf bank_mask:0xf
	v_cndmask_b32_e64 v20, v20, 0, s[0:1]
	v_add_u32_e32 v2, v20, v2
	s_nop 1
	v_mov_b32_dpp v20, v2 row_shr:2 row_mask:0xf bank_mask:0xf
	v_cndmask_b32_e64 v20, 0, v20, s[2:3]
	v_add_u32_e32 v2, v2, v20
	;; [unrolled: 4-line block ×4, first 2 shown]
	s_nop 1
	v_mov_b32_dpp v20, v2 row_bcast:15 row_mask:0xf bank_mask:0xf
	v_cndmask_b32_e64 v20, v20, 0, s[8:9]
	v_add_u32_e32 v2, v2, v20
	s_nop 1
	v_mov_b32_dpp v20, v2 row_bcast:31 row_mask:0xf bank_mask:0xf
	v_cndmask_b32_e64 v20, 0, v20, s[10:11]
	v_add_u32_e32 v2, v2, v20
	s_and_saveexec_b64 s[14:15], s[12:13]
; %bb.20:                               ;   in Loop: Header=BB14_15 Depth=1
	ds_write_b32 v0, v2
; %bb.21:                               ;   in Loop: Header=BB14_15 Depth=1
	s_or_b64 exec, exec, s[14:15]
	ds_bpermute_b32 v2, v8, v2
	s_waitcnt lgkmcnt(0)
	; wave barrier
	s_cmp_gt_u32 s18, 23
	s_mov_b64 s[14:15], -1
	v_cndmask_b32_e64 v2, v2, 0, s[16:17]
	v_add_u32_e32 v5, v2, v5
	v_add_u32_e32 v6, v5, v6
	;; [unrolled: 1-line block ×3, first 2 shown]
	ds_write2_b32 v10, v2, v5 offset0:1 offset1:2
	ds_write2_b32 v10, v6, v1 offset0:3 offset1:4
	s_waitcnt lgkmcnt(0)
	; wave barrier
	ds_read_b32 v1, v15 offset:4
	ds_read_b32 v5, v18 offset:4
	s_waitcnt lgkmcnt(1)
	v_add_u32_e32 v2, v1, v16
	s_waitcnt lgkmcnt(0)
	v_add3_u32 v1, v19, v17, v5
                                        ; implicit-def: $vgpr6
	s_cbranch_scc1 .LBB14_14
; %bb.22:                               ;   in Loop: Header=BB14_15 Depth=1
	v_lshlrev_b32_e32 v5, 2, v2
	; wave barrier
	ds_write_b32 v5, v14
	v_lshlrev_b32_e32 v5, 2, v1
	ds_write_b32 v5, v12
	s_waitcnt lgkmcnt(0)
	; wave barrier
	ds_read2st64_b32 v[5:6], v11 offset1:1
	s_add_i32 s18, s18, 8
	s_mov_b64 s[14:15], 0
	s_waitcnt lgkmcnt(0)
	; wave barrier
	s_branch .LBB14_14
.LBB14_23:
	v_lshlrev_b32_e32 v0, 2, v2
	; wave barrier
	ds_write_b32 v0, v14
	v_lshlrev_b32_e32 v0, 2, v1
	ds_write_b32 v0, v12
	s_waitcnt lgkmcnt(0)
	; wave barrier
.LBB14_24:
	v_lshlrev_b32_e32 v0, 2, v7
	ds_read_b64 v[0:1], v0
	v_bfrev_b32_e32 v2, -2
	s_waitcnt lgkmcnt(0)
	v_cmp_gt_i32_e32 vcc, 0, v0
	v_cndmask_b32_e64 v5, v2, 0, vcc
	v_cmp_gt_i32_e32 vcc, 0, v1
	v_cndmask_b32_e64 v2, v2, 0, vcc
	v_xor_b32_e32 v0, v5, v0
	v_xor_b32_e32 v1, v2, v1
	global_store_dwordx2 v[3:4], v[0:1], off
	s_endpgm
	.section	.rodata,"a",@progbits
	.p2align	6, 0x0
	.amdhsa_kernel _Z15sort_key_kernelILj64ELj2ELb0ELb1EfEvPT3_jj
		.amdhsa_group_segment_fixed_size 1040
		.amdhsa_private_segment_fixed_size 0
		.amdhsa_kernarg_size 272
		.amdhsa_user_sgpr_count 6
		.amdhsa_user_sgpr_private_segment_buffer 1
		.amdhsa_user_sgpr_dispatch_ptr 0
		.amdhsa_user_sgpr_queue_ptr 0
		.amdhsa_user_sgpr_kernarg_segment_ptr 1
		.amdhsa_user_sgpr_dispatch_id 0
		.amdhsa_user_sgpr_flat_scratch_init 0
		.amdhsa_user_sgpr_private_segment_size 0
		.amdhsa_uses_dynamic_stack 0
		.amdhsa_system_sgpr_private_segment_wavefront_offset 0
		.amdhsa_system_sgpr_workgroup_id_x 1
		.amdhsa_system_sgpr_workgroup_id_y 0
		.amdhsa_system_sgpr_workgroup_id_z 0
		.amdhsa_system_sgpr_workgroup_info 0
		.amdhsa_system_vgpr_workitem_id 2
		.amdhsa_next_free_vgpr 31
		.amdhsa_next_free_sgpr 30
		.amdhsa_reserve_vcc 1
		.amdhsa_reserve_flat_scratch 0
		.amdhsa_float_round_mode_32 0
		.amdhsa_float_round_mode_16_64 0
		.amdhsa_float_denorm_mode_32 3
		.amdhsa_float_denorm_mode_16_64 3
		.amdhsa_dx10_clamp 1
		.amdhsa_ieee_mode 1
		.amdhsa_fp16_overflow 0
		.amdhsa_exception_fp_ieee_invalid_op 0
		.amdhsa_exception_fp_denorm_src 0
		.amdhsa_exception_fp_ieee_div_zero 0
		.amdhsa_exception_fp_ieee_overflow 0
		.amdhsa_exception_fp_ieee_underflow 0
		.amdhsa_exception_fp_ieee_inexact 0
		.amdhsa_exception_int_div_zero 0
	.end_amdhsa_kernel
	.section	.text._Z15sort_key_kernelILj64ELj2ELb0ELb1EfEvPT3_jj,"axG",@progbits,_Z15sort_key_kernelILj64ELj2ELb0ELb1EfEvPT3_jj,comdat
.Lfunc_end14:
	.size	_Z15sort_key_kernelILj64ELj2ELb0ELb1EfEvPT3_jj, .Lfunc_end14-_Z15sort_key_kernelILj64ELj2ELb0ELb1EfEvPT3_jj
                                        ; -- End function
	.set _Z15sort_key_kernelILj64ELj2ELb0ELb1EfEvPT3_jj.num_vgpr, 31
	.set _Z15sort_key_kernelILj64ELj2ELb0ELb1EfEvPT3_jj.num_agpr, 0
	.set _Z15sort_key_kernelILj64ELj2ELb0ELb1EfEvPT3_jj.numbered_sgpr, 30
	.set _Z15sort_key_kernelILj64ELj2ELb0ELb1EfEvPT3_jj.num_named_barrier, 0
	.set _Z15sort_key_kernelILj64ELj2ELb0ELb1EfEvPT3_jj.private_seg_size, 0
	.set _Z15sort_key_kernelILj64ELj2ELb0ELb1EfEvPT3_jj.uses_vcc, 1
	.set _Z15sort_key_kernelILj64ELj2ELb0ELb1EfEvPT3_jj.uses_flat_scratch, 0
	.set _Z15sort_key_kernelILj64ELj2ELb0ELb1EfEvPT3_jj.has_dyn_sized_stack, 0
	.set _Z15sort_key_kernelILj64ELj2ELb0ELb1EfEvPT3_jj.has_recursion, 0
	.set _Z15sort_key_kernelILj64ELj2ELb0ELb1EfEvPT3_jj.has_indirect_call, 0
	.section	.AMDGPU.csdata,"",@progbits
; Kernel info:
; codeLenInByte = 3012
; TotalNumSgprs: 34
; NumVgprs: 31
; ScratchSize: 0
; MemoryBound: 0
; FloatMode: 240
; IeeeMode: 1
; LDSByteSize: 1040 bytes/workgroup (compile time only)
; SGPRBlocks: 4
; VGPRBlocks: 7
; NumSGPRsForWavesPerEU: 34
; NumVGPRsForWavesPerEU: 31
; Occupancy: 8
; WaveLimiterHint : 0
; COMPUTE_PGM_RSRC2:SCRATCH_EN: 0
; COMPUTE_PGM_RSRC2:USER_SGPR: 6
; COMPUTE_PGM_RSRC2:TRAP_HANDLER: 0
; COMPUTE_PGM_RSRC2:TGID_X_EN: 1
; COMPUTE_PGM_RSRC2:TGID_Y_EN: 0
; COMPUTE_PGM_RSRC2:TGID_Z_EN: 0
; COMPUTE_PGM_RSRC2:TIDIG_COMP_CNT: 2
	.section	.text._Z15sort_key_kernelILj255ELj1ELb0ELb0EhEvPT3_jj,"axG",@progbits,_Z15sort_key_kernelILj255ELj1ELb0ELb0EhEvPT3_jj,comdat
	.protected	_Z15sort_key_kernelILj255ELj1ELb0ELb0EhEvPT3_jj ; -- Begin function _Z15sort_key_kernelILj255ELj1ELb0ELb0EhEvPT3_jj
	.globl	_Z15sort_key_kernelILj255ELj1ELb0ELb0EhEvPT3_jj
	.p2align	8
	.type	_Z15sort_key_kernelILj255ELj1ELb0ELb0EhEvPT3_jj,@function
_Z15sort_key_kernelILj255ELj1ELb0ELb0EhEvPT3_jj: ; @_Z15sort_key_kernelILj255ELj1ELb0ELb0EhEvPT3_jj
; %bb.0:
	s_load_dwordx4 s[36:39], s[4:5], 0x0
	s_mulk_i32 s6, 0xff
	s_movk_i32 s33, 0xff
	v_mov_b32_e32 v9, 0
	v_lshlrev_b32_e32 v11, 5, v0
	s_waitcnt lgkmcnt(0)
	s_add_u32 s34, s36, s6
	s_addc_u32 s35, s37, 0
	global_load_ubyte v13, v0, s[34:35]
	s_cmp_lg_u32 s38, 0
	s_cselect_b64 s[0:1], -1, 0
	s_cmp_lg_u32 s39, 8
	s_cselect_b64 s[2:3], -1, 0
	s_or_b64 s[0:1], s[0:1], s[2:3]
	v_mov_b32_e32 v10, s35
	s_and_b64 vcc, exec, s[0:1]
	v_mbcnt_lo_u32_b32 v15, -1, 0
	v_cmp_gt_u32_e64 s[0:1], 4, v0
	v_cmp_lt_u32_e64 s[2:3], 63, v0
	v_lshrrev_b32_e32 v14, 4, v0
	v_lshlrev_b32_e32 v12, 2, v0
	s_cbranch_vccz .LBB15_16
; %bb.1:
	v_mbcnt_hi_u32_b32 v1, -1, v15
	v_and_b32_e32 v2, 15, v1
	v_cmp_eq_u32_e64 s[4:5], 0, v2
	v_cmp_lt_u32_e64 s[6:7], 1, v2
	v_cmp_lt_u32_e64 s[8:9], 3, v2
	;; [unrolled: 1-line block ×3, first 2 shown]
	v_and_b32_e32 v2, 16, v1
	v_cmp_eq_u32_e64 s[12:13], 0, v2
	v_and_b32_e32 v2, 0xc0, v0
	v_min_u32_e32 v2, 0xbf, v2
	v_add_u32_e32 v2, 63, v2
	v_cmp_eq_u32_e64 s[16:17], v0, v2
	v_subrev_co_u32_e64 v2, s[18:19], 1, v1
	v_and_b32_e32 v3, 64, v1
	v_cmp_lt_i32_e32 vcc, v2, v3
	v_cmp_lt_u32_e64 s[14:15], 31, v1
	v_cndmask_b32_e32 v2, v2, v1, vcc
	v_and_b32_e32 v1, 3, v1
	v_cmp_eq_u32_e64 s[20:21], 0, v1
	v_cmp_lt_u32_e64 s[22:23], 1, v1
	v_mul_u32_u24_e32 v1, 3, v0
	s_movk_i32 s24, 0x3fc
	s_movk_i32 s26, 0x2fd
	;; [unrolled: 1-line block ×3, first 2 shown]
	v_add_u32_e32 v18, v0, v1
	v_lshlrev_b32_e32 v16, 2, v2
	v_and_b32_e32 v17, 12, v14
	v_cmp_gt_u32_e64 s[24:25], s24, v0
	v_cmp_gt_u32_e64 s[26:27], s26, v0
	;; [unrolled: 1-line block ×4, first 2 shown]
	s_sub_i32 s35, s39, s38
	v_add_u32_e32 v19, 0x7f8, v18
	s_waitcnt vmcnt(0)
	v_mov_b32_e32 v2, v13
	s_branch .LBB15_3
.LBB15_2:                               ;   in Loop: Header=BB15_3 Depth=1
	s_andn2_b64 vcc, exec, s[36:37]
	s_cbranch_vccz .LBB15_18
.LBB15_3:                               ; =>This Inner Loop Header: Depth=1
	v_mov_b32_e32 v20, v2
	ds_write2_b32 v18, v9, v9 offset1:255
	ds_write2_b32 v19, v9, v9 offset1:255
	s_and_saveexec_b64 s[36:37], s[24:25]
	s_cbranch_execz .LBB15_8
; %bb.4:                                ;   in Loop: Header=BB15_3 Depth=1
	ds_write_b32 v18, v9 offset:4080
	s_and_b64 exec, exec, s[26:27]
	s_cbranch_execz .LBB15_8
; %bb.5:                                ;   in Loop: Header=BB15_3 Depth=1
	ds_write_b32 v18, v9 offset:5100
	s_and_b64 exec, exec, s[28:29]
	;; [unrolled: 4-line block ×3, first 2 shown]
; %bb.7:                                ;   in Loop: Header=BB15_3 Depth=1
	ds_write_b32 v18, v9 offset:7140
.LBB15_8:                               ;   in Loop: Header=BB15_3 Depth=1
	s_or_b64 exec, exec, s[36:37]
	s_min_u32 s36, s35, 4
	v_lshrrev_b32_sdwa v1, s38, v20 dst_sel:DWORD dst_unused:UNUSED_PAD src0_sel:DWORD src1_sel:BYTE_0
	v_bfe_u32 v1, v1, 0, s36
	v_and_b32_e32 v2, 7, v1
	v_lshrrev_b32_e32 v1, 2, v1
	v_mad_u32_u24 v2, v2, s33, v0
	v_and_b32_e32 v1, 30, v1
	v_lshl_add_u32 v22, v2, 2, v1
	ds_read_u16 v21, v22
	s_waitcnt lgkmcnt(0)
	v_add_u16_e32 v1, 1, v21
	ds_write_b16 v22, v1
	s_waitcnt lgkmcnt(0)
	s_barrier
	ds_read2_b64 v[5:8], v11 offset1:1
	ds_read2_b64 v[1:4], v11 offset0:2 offset1:3
	s_waitcnt lgkmcnt(1)
	v_add_u32_e32 v23, v6, v5
	v_add3_u32 v23, v23, v7, v8
	s_waitcnt lgkmcnt(0)
	v_add3_u32 v23, v23, v1, v2
	v_add3_u32 v4, v23, v3, v4
	s_nop 1
	v_mov_b32_dpp v23, v4 row_shr:1 row_mask:0xf bank_mask:0xf
	v_cndmask_b32_e64 v23, v23, 0, s[4:5]
	v_add_u32_e32 v4, v23, v4
	s_nop 1
	v_mov_b32_dpp v23, v4 row_shr:2 row_mask:0xf bank_mask:0xf
	v_cndmask_b32_e64 v23, 0, v23, s[6:7]
	v_add_u32_e32 v4, v4, v23
	;; [unrolled: 4-line block ×4, first 2 shown]
	s_nop 1
	v_mov_b32_dpp v23, v4 row_bcast:15 row_mask:0xf bank_mask:0xf
	v_cndmask_b32_e64 v23, v23, 0, s[12:13]
	v_add_u32_e32 v4, v4, v23
	s_nop 1
	v_mov_b32_dpp v23, v4 row_bcast:31 row_mask:0xf bank_mask:0xf
	v_cndmask_b32_e64 v23, 0, v23, s[14:15]
	v_add_u32_e32 v4, v4, v23
	s_and_saveexec_b64 s[36:37], s[16:17]
; %bb.9:                                ;   in Loop: Header=BB15_3 Depth=1
	ds_write_b32 v17, v4 offset:8160
; %bb.10:                               ;   in Loop: Header=BB15_3 Depth=1
	s_or_b64 exec, exec, s[36:37]
	s_waitcnt lgkmcnt(0)
	s_barrier
	s_and_saveexec_b64 s[36:37], s[0:1]
	s_cbranch_execz .LBB15_12
; %bb.11:                               ;   in Loop: Header=BB15_3 Depth=1
	ds_read_b32 v23, v12 offset:8160
	s_waitcnt lgkmcnt(0)
	s_nop 0
	v_mov_b32_dpp v24, v23 row_shr:1 row_mask:0xf bank_mask:0xf
	v_cndmask_b32_e64 v24, v24, 0, s[20:21]
	v_add_u32_e32 v23, v24, v23
	s_nop 1
	v_mov_b32_dpp v24, v23 row_shr:2 row_mask:0xf bank_mask:0xf
	v_cndmask_b32_e64 v24, 0, v24, s[22:23]
	v_add_u32_e32 v23, v23, v24
	ds_write_b32 v12, v23 offset:8160
.LBB15_12:                              ;   in Loop: Header=BB15_3 Depth=1
	s_or_b64 exec, exec, s[36:37]
	v_mov_b32_e32 v23, 0
	s_waitcnt lgkmcnt(0)
	s_barrier
	s_and_saveexec_b64 s[36:37], s[2:3]
; %bb.13:                               ;   in Loop: Header=BB15_3 Depth=1
	ds_read_b32 v23, v17 offset:8156
; %bb.14:                               ;   in Loop: Header=BB15_3 Depth=1
	s_or_b64 exec, exec, s[36:37]
	s_waitcnt lgkmcnt(0)
	v_add_u32_e32 v4, v23, v4
	ds_bpermute_b32 v4, v16, v4
	ds_read_b32 v24, v9 offset:8172
	s_add_i32 s38, s38, 4
	s_cmp_ge_u32 s38, s39
	s_mov_b64 s[36:37], -1
	s_waitcnt lgkmcnt(1)
	v_cndmask_b32_e64 v4, v4, v23, s[18:19]
	s_waitcnt lgkmcnt(0)
	v_lshl_add_u32 v4, v24, 16, v4
	v_add_u32_e32 v5, v4, v5
	v_add_u32_e32 v6, v5, v6
	;; [unrolled: 1-line block ×7, first 2 shown]
	ds_write2_b64 v11, v[4:5], v[6:7] offset1:1
	ds_write2_b64 v11, v[23:24], v[1:2] offset0:2 offset1:3
	s_waitcnt lgkmcnt(0)
	s_barrier
	ds_read_u16 v1, v22
	s_waitcnt lgkmcnt(0)
                                        ; implicit-def: $vgpr2
	s_cbranch_scc1 .LBB15_2
; %bb.15:                               ;   in Loop: Header=BB15_3 Depth=1
	v_add_u32_sdwa v2, v1, v21 dst_sel:DWORD dst_unused:UNUSED_PAD src0_sel:DWORD src1_sel:WORD_0
	s_barrier
	ds_write_b8 v2, v20
	s_waitcnt lgkmcnt(0)
	s_barrier
	ds_read_u8 v2, v0
	s_add_i32 s35, s35, -4
	s_mov_b64 s[36:37], 0
	s_waitcnt lgkmcnt(0)
	s_barrier
	s_branch .LBB15_2
.LBB15_16:
	v_add_co_u32_e32 v9, vcc, s34, v0
	v_addc_co_u32_e32 v10, vcc, 0, v10, vcc
	s_cbranch_execnz .LBB15_19
.LBB15_17:
	ds_read_u8 v0, v0
	s_waitcnt lgkmcnt(0)
	global_store_byte v[9:10], v0, off
	s_endpgm
.LBB15_18:
	v_add_u32_sdwa v1, v1, v21 dst_sel:DWORD dst_unused:UNUSED_PAD src0_sel:DWORD src1_sel:WORD_0
	s_barrier
	ds_write_b8 v1, v20
	s_waitcnt lgkmcnt(0)
	s_barrier
	v_add_co_u32_e32 v9, vcc, s34, v0
	v_addc_co_u32_e32 v10, vcc, 0, v10, vcc
	s_branch .LBB15_17
.LBB15_19:
	s_movk_i32 s0, 0xffe4
	v_mul_i32_i24_e32 v2, 0xffffffe4, v0
	v_mad_i32_i24 v3, v0, s0, v11
	v_mov_b32_e32 v1, 0
	s_movk_i32 s0, 0x3fc
	ds_write2_b32 v3, v1, v1 offset1:255
	v_add_u32_e32 v3, 0x7f8, v3
	v_cmp_gt_u32_e64 s[2:3], s0, v0
	v_add_u32_e32 v16, v11, v2
	ds_write2_b32 v3, v1, v1 offset1:255
	s_and_saveexec_b64 s[0:1], s[2:3]
	s_cbranch_execz .LBB15_24
; %bb.20:
	s_movk_i32 s4, 0x2fd
	v_cmp_gt_u32_e32 vcc, s4, v0
	ds_write_b32 v16, v1 offset:4080
	s_and_b64 exec, exec, vcc
	s_cbranch_execz .LBB15_24
; %bb.21:
	s_movk_i32 s4, 0x1fe
	v_mov_b32_e32 v1, 0
	v_cmp_gt_u32_e32 vcc, s4, v0
	ds_write_b32 v16, v1 offset:5100
	s_and_b64 exec, exec, vcc
	s_cbranch_execz .LBB15_24
; %bb.22:
	s_movk_i32 s4, 0xff
	v_cmp_gt_u32_e32 vcc, s4, v0
	ds_write_b32 v16, v1 offset:6120
	s_and_b64 exec, exec, vcc
; %bb.23:
	v_mov_b32_e32 v1, 0
	ds_write_b32 v16, v1 offset:7140
.LBB15_24:
	s_or_b64 exec, exec, s[0:1]
	s_waitcnt vmcnt(0)
	v_lshrrev_b16_e32 v1, 2, v13
	v_and_b32_e32 v2, 7, v13
	s_movk_i32 s0, 0xff
	v_mad_u32_u24 v2, v2, s0, v0
	v_and_b32_e32 v1, 2, v1
	v_lshl_or_b32 v18, v2, 2, v1
	ds_read_u16 v17, v18
	v_mbcnt_hi_u32_b32 v19, -1, v15
	v_and_b32_e32 v1, 16, v19
	v_cmp_eq_u32_e32 vcc, 0, v1
	v_and_b32_e32 v1, 0xc0, v0
	s_waitcnt lgkmcnt(0)
	v_add_u16_e32 v2, 1, v17
	ds_write_b16 v18, v2
	s_waitcnt lgkmcnt(0)
	s_barrier
	ds_read2_b64 v[5:8], v11 offset1:1
	v_min_u32_e32 v1, 0xbf, v1
	v_add_u32_e32 v21, 63, v1
	ds_read2_b64 v[1:4], v11 offset0:2 offset1:3
	v_cmp_eq_u32_e64 s[0:1], v0, v21
	s_waitcnt lgkmcnt(1)
	v_add_u32_e32 v21, v6, v5
	v_add3_u32 v21, v21, v7, v8
	v_and_b32_e32 v15, 15, v19
	s_waitcnt lgkmcnt(0)
	v_add3_u32 v21, v21, v1, v2
	v_add3_u32 v4, v21, v3, v4
	v_cmp_eq_u32_e64 s[8:9], 0, v15
	v_cmp_lt_u32_e64 s[10:11], 1, v15
	v_mov_b32_dpp v21, v4 row_shr:1 row_mask:0xf bank_mask:0xf
	v_cndmask_b32_e64 v21, v21, 0, s[8:9]
	v_add_u32_e32 v4, v21, v4
	v_cmp_lt_u32_e64 s[12:13], 3, v15
	v_cmp_lt_u32_e64 s[16:17], 7, v15
	v_mov_b32_dpp v21, v4 row_shr:2 row_mask:0xf bank_mask:0xf
	v_cndmask_b32_e64 v21, 0, v21, s[10:11]
	v_add_u32_e32 v4, v4, v21
	v_bfe_i32 v20, v19, 4, 1
	v_cmp_lt_u32_e64 s[20:21], 31, v19
	v_mov_b32_dpp v21, v4 row_shr:4 row_mask:0xf bank_mask:0xf
	v_cndmask_b32_e64 v21, 0, v21, s[12:13]
	v_add_u32_e32 v4, v4, v21
	v_and_b32_e32 v14, 12, v14
	s_nop 0
	v_mov_b32_dpp v21, v4 row_shr:8 row_mask:0xf bank_mask:0xf
	v_cndmask_b32_e64 v15, 0, v21, s[16:17]
	v_add_u32_e32 v4, v4, v15
	s_nop 1
	v_mov_b32_dpp v15, v4 row_bcast:15 row_mask:0xf bank_mask:0xf
	v_and_b32_e32 v15, v20, v15
	v_add_u32_e32 v4, v4, v15
	s_nop 1
	v_mov_b32_dpp v15, v4 row_bcast:31 row_mask:0xf bank_mask:0xf
	v_cndmask_b32_e64 v15, 0, v15, s[20:21]
	v_add_u32_e32 v20, v4, v15
	s_and_saveexec_b64 s[4:5], s[0:1]
; %bb.25:
	ds_write_b32 v14, v20 offset:8160
; %bb.26:
	s_or_b64 exec, exec, s[4:5]
	v_and_b32_e32 v4, 3, v19
	v_cmp_gt_u32_e64 s[14:15], 4, v0
	v_cmp_lt_u32_e64 s[4:5], 1, v4
	v_cmp_eq_u32_e64 s[6:7], 0, v4
	s_waitcnt lgkmcnt(0)
	s_barrier
	s_and_saveexec_b64 s[18:19], s[14:15]
	s_cbranch_execz .LBB15_28
; %bb.27:
	ds_read_b32 v4, v16 offset:8160
	s_waitcnt lgkmcnt(0)
	s_nop 0
	v_mov_b32_dpp v15, v4 row_shr:1 row_mask:0xf bank_mask:0xf
	v_cndmask_b32_e64 v15, v15, 0, s[6:7]
	v_add_u32_e32 v4, v15, v4
	s_nop 1
	v_mov_b32_dpp v15, v4 row_shr:2 row_mask:0xf bank_mask:0xf
	v_cndmask_b32_e64 v15, 0, v15, s[4:5]
	v_add_u32_e32 v4, v4, v15
	ds_write_b32 v16, v4 offset:8160
.LBB15_28:
	s_or_b64 exec, exec, s[18:19]
	v_cmp_lt_u32_e64 s[18:19], 63, v0
	v_mov_b32_e32 v4, 0
	v_mov_b32_e32 v21, 0
	s_waitcnt lgkmcnt(0)
	s_barrier
	s_and_saveexec_b64 s[22:23], s[18:19]
; %bb.29:
	ds_read_b32 v21, v14 offset:8156
; %bb.30:
	s_or_b64 exec, exec, s[22:23]
	v_add_u32_e32 v15, -1, v19
	v_and_b32_e32 v22, 64, v19
	v_cmp_lt_i32_e64 s[22:23], v15, v22
	v_cndmask_b32_e64 v15, v15, v19, s[22:23]
	v_lshlrev_b32_e32 v15, 2, v15
	s_waitcnt lgkmcnt(0)
	v_add_u32_e32 v20, v21, v20
	ds_bpermute_b32 v20, v15, v20
	ds_read_b32 v22, v4 offset:8172
	v_cmp_eq_u32_e64 s[22:23], 0, v19
	s_waitcnt lgkmcnt(1)
	v_cndmask_b32_e64 v19, v20, v21, s[22:23]
	s_waitcnt lgkmcnt(0)
	v_lshl_add_u32 v19, v22, 16, v19
	v_add_u32_e32 v20, v19, v5
	v_add_u32_e32 v5, v20, v6
	;; [unrolled: 1-line block ×7, first 2 shown]
	ds_write2_b64 v11, v[19:20], v[5:6] offset1:1
	ds_write2_b64 v11, v[7:8], v[1:2] offset0:2 offset1:3
	s_waitcnt lgkmcnt(0)
	s_barrier
	ds_read_u16 v1, v18
	s_waitcnt lgkmcnt(0)
	s_barrier
	v_add_u32_sdwa v1, v1, v17 dst_sel:DWORD dst_unused:UNUSED_PAD src0_sel:DWORD src1_sel:WORD_0
	ds_write_b8 v1, v13
	s_waitcnt lgkmcnt(0)
	s_barrier
	ds_read_u8 v13, v0
	v_add_u32_e32 v1, 0x7f8, v12
	s_waitcnt lgkmcnt(0)
	s_barrier
	ds_write2_b32 v12, v4, v4 offset1:255
	ds_write2_b32 v1, v4, v4 offset1:255
	s_and_saveexec_b64 s[24:25], s[2:3]
	s_cbranch_execz .LBB15_35
; %bb.31:
	s_movk_i32 s2, 0x2fd
	v_mov_b32_e32 v1, 0
	v_cmp_gt_u32_e64 s[2:3], s2, v0
	ds_write_b32 v12, v1 offset:4080
	s_and_b64 exec, exec, s[2:3]
	s_cbranch_execz .LBB15_35
; %bb.32:
	s_movk_i32 s2, 0x1fe
	v_cmp_gt_u32_e64 s[2:3], s2, v0
	ds_write_b32 v12, v1 offset:5100
	s_and_b64 exec, exec, s[2:3]
	s_cbranch_execz .LBB15_35
; %bb.33:
	s_movk_i32 s2, 0xff
	v_mov_b32_e32 v1, 0
	v_cmp_gt_u32_e64 s[2:3], s2, v0
	ds_write_b32 v12, v1 offset:6120
	s_and_b64 exec, exec, s[2:3]
; %bb.34:
	ds_write_b32 v12, v1 offset:7140
.LBB15_35:
	s_or_b64 exec, exec, s[24:25]
	v_lshrrev_b16_e32 v1, 4, v13
	v_and_b32_e32 v1, 15, v1
	v_mov_b32_e32 v2, 7
	v_mov_b32_e32 v3, 2
	v_and_b32_sdwa v2, v1, v2 dst_sel:DWORD dst_unused:UNUSED_PAD src0_sel:WORD_0 src1_sel:DWORD
	s_movk_i32 s2, 0xff
	v_lshrrev_b32_sdwa v1, v3, v1 dst_sel:DWORD dst_unused:UNUSED_PAD src0_sel:DWORD src1_sel:WORD_0
	v_mad_u32_u24 v2, v2, s2, v0
	v_and_b32_e32 v1, 2, v1
	v_lshl_or_b32 v17, v2, 2, v1
	ds_read_u16 v12, v17
	s_waitcnt lgkmcnt(0)
	v_add_u16_e32 v1, 1, v12
	ds_write_b16 v17, v1
	s_waitcnt lgkmcnt(0)
	s_barrier
	ds_read2_b64 v[5:8], v11 offset1:1
	ds_read2_b64 v[1:4], v11 offset0:2 offset1:3
	s_waitcnt lgkmcnt(1)
	v_add_u32_e32 v18, v6, v5
	v_add3_u32 v18, v18, v7, v8
	s_waitcnt lgkmcnt(0)
	v_add3_u32 v18, v18, v1, v2
	v_add3_u32 v4, v18, v3, v4
	s_nop 1
	v_mov_b32_dpp v18, v4 row_shr:1 row_mask:0xf bank_mask:0xf
	v_cndmask_b32_e64 v18, v18, 0, s[8:9]
	v_add_u32_e32 v4, v18, v4
	s_nop 1
	v_mov_b32_dpp v18, v4 row_shr:2 row_mask:0xf bank_mask:0xf
	v_cndmask_b32_e64 v18, 0, v18, s[10:11]
	v_add_u32_e32 v4, v4, v18
	s_nop 1
	v_mov_b32_dpp v18, v4 row_shr:4 row_mask:0xf bank_mask:0xf
	v_cndmask_b32_e64 v18, 0, v18, s[12:13]
	v_add_u32_e32 v4, v4, v18
	s_nop 1
	v_mov_b32_dpp v18, v4 row_shr:8 row_mask:0xf bank_mask:0xf
	v_cndmask_b32_e64 v18, 0, v18, s[16:17]
	v_add_u32_e32 v4, v4, v18
	s_nop 1
	v_mov_b32_dpp v18, v4 row_bcast:15 row_mask:0xf bank_mask:0xf
	v_cndmask_b32_e64 v18, v18, 0, vcc
	v_add_u32_e32 v4, v4, v18
	s_nop 1
	v_mov_b32_dpp v18, v4 row_bcast:31 row_mask:0xf bank_mask:0xf
	v_cndmask_b32_e64 v18, 0, v18, s[20:21]
	v_add_u32_e32 v4, v4, v18
	s_and_saveexec_b64 s[2:3], s[0:1]
; %bb.36:
	ds_write_b32 v14, v4 offset:8160
; %bb.37:
	s_or_b64 exec, exec, s[2:3]
	s_waitcnt lgkmcnt(0)
	s_barrier
	s_and_saveexec_b64 s[0:1], s[14:15]
	s_cbranch_execz .LBB15_39
; %bb.38:
	ds_read_b32 v18, v16 offset:8160
	s_waitcnt lgkmcnt(0)
	s_nop 0
	v_mov_b32_dpp v19, v18 row_shr:1 row_mask:0xf bank_mask:0xf
	v_cndmask_b32_e64 v19, v19, 0, s[6:7]
	v_add_u32_e32 v18, v19, v18
	s_nop 1
	v_mov_b32_dpp v19, v18 row_shr:2 row_mask:0xf bank_mask:0xf
	v_cndmask_b32_e64 v19, 0, v19, s[4:5]
	v_add_u32_e32 v18, v18, v19
	ds_write_b32 v16, v18 offset:8160
.LBB15_39:
	s_or_b64 exec, exec, s[0:1]
	v_mov_b32_e32 v16, 0
	v_mov_b32_e32 v18, 0
	s_waitcnt lgkmcnt(0)
	s_barrier
	s_and_saveexec_b64 s[0:1], s[18:19]
; %bb.40:
	ds_read_b32 v18, v14 offset:8156
; %bb.41:
	s_or_b64 exec, exec, s[0:1]
	s_waitcnt lgkmcnt(0)
	v_add_u32_e32 v4, v18, v4
	ds_bpermute_b32 v4, v15, v4
	ds_read_b32 v14, v16 offset:8172
	s_waitcnt lgkmcnt(1)
	v_cndmask_b32_e64 v4, v4, v18, s[22:23]
	s_waitcnt lgkmcnt(0)
	v_lshl_add_u32 v4, v14, 16, v4
	v_add_u32_e32 v5, v4, v5
	v_add_u32_e32 v6, v5, v6
	;; [unrolled: 1-line block ×7, first 2 shown]
	ds_write2_b64 v11, v[4:5], v[6:7] offset1:1
	ds_write2_b64 v11, v[14:15], v[1:2] offset0:2 offset1:3
	s_waitcnt lgkmcnt(0)
	s_barrier
	ds_read_u16 v1, v17
	s_waitcnt lgkmcnt(0)
	s_barrier
	v_add_u32_sdwa v1, v1, v12 dst_sel:DWORD dst_unused:UNUSED_PAD src0_sel:DWORD src1_sel:WORD_0
	ds_write_b8 v1, v13
	s_waitcnt lgkmcnt(0)
	s_barrier
	ds_read_u8 v0, v0
	s_waitcnt lgkmcnt(0)
	global_store_byte v[9:10], v0, off
	s_endpgm
	.section	.rodata,"a",@progbits
	.p2align	6, 0x0
	.amdhsa_kernel _Z15sort_key_kernelILj255ELj1ELb0ELb0EhEvPT3_jj
		.amdhsa_group_segment_fixed_size 8176
		.amdhsa_private_segment_fixed_size 0
		.amdhsa_kernarg_size 16
		.amdhsa_user_sgpr_count 6
		.amdhsa_user_sgpr_private_segment_buffer 1
		.amdhsa_user_sgpr_dispatch_ptr 0
		.amdhsa_user_sgpr_queue_ptr 0
		.amdhsa_user_sgpr_kernarg_segment_ptr 1
		.amdhsa_user_sgpr_dispatch_id 0
		.amdhsa_user_sgpr_flat_scratch_init 0
		.amdhsa_user_sgpr_private_segment_size 0
		.amdhsa_uses_dynamic_stack 0
		.amdhsa_system_sgpr_private_segment_wavefront_offset 0
		.amdhsa_system_sgpr_workgroup_id_x 1
		.amdhsa_system_sgpr_workgroup_id_y 0
		.amdhsa_system_sgpr_workgroup_id_z 0
		.amdhsa_system_sgpr_workgroup_info 0
		.amdhsa_system_vgpr_workitem_id 0
		.amdhsa_next_free_vgpr 29
		.amdhsa_next_free_sgpr 61
		.amdhsa_reserve_vcc 1
		.amdhsa_reserve_flat_scratch 0
		.amdhsa_float_round_mode_32 0
		.amdhsa_float_round_mode_16_64 0
		.amdhsa_float_denorm_mode_32 3
		.amdhsa_float_denorm_mode_16_64 3
		.amdhsa_dx10_clamp 1
		.amdhsa_ieee_mode 1
		.amdhsa_fp16_overflow 0
		.amdhsa_exception_fp_ieee_invalid_op 0
		.amdhsa_exception_fp_denorm_src 0
		.amdhsa_exception_fp_ieee_div_zero 0
		.amdhsa_exception_fp_ieee_overflow 0
		.amdhsa_exception_fp_ieee_underflow 0
		.amdhsa_exception_fp_ieee_inexact 0
		.amdhsa_exception_int_div_zero 0
	.end_amdhsa_kernel
	.section	.text._Z15sort_key_kernelILj255ELj1ELb0ELb0EhEvPT3_jj,"axG",@progbits,_Z15sort_key_kernelILj255ELj1ELb0ELb0EhEvPT3_jj,comdat
.Lfunc_end15:
	.size	_Z15sort_key_kernelILj255ELj1ELb0ELb0EhEvPT3_jj, .Lfunc_end15-_Z15sort_key_kernelILj255ELj1ELb0ELb0EhEvPT3_jj
                                        ; -- End function
	.set _Z15sort_key_kernelILj255ELj1ELb0ELb0EhEvPT3_jj.num_vgpr, 25
	.set _Z15sort_key_kernelILj255ELj1ELb0ELb0EhEvPT3_jj.num_agpr, 0
	.set _Z15sort_key_kernelILj255ELj1ELb0ELb0EhEvPT3_jj.numbered_sgpr, 40
	.set _Z15sort_key_kernelILj255ELj1ELb0ELb0EhEvPT3_jj.num_named_barrier, 0
	.set _Z15sort_key_kernelILj255ELj1ELb0ELb0EhEvPT3_jj.private_seg_size, 0
	.set _Z15sort_key_kernelILj255ELj1ELb0ELb0EhEvPT3_jj.uses_vcc, 1
	.set _Z15sort_key_kernelILj255ELj1ELb0ELb0EhEvPT3_jj.uses_flat_scratch, 0
	.set _Z15sort_key_kernelILj255ELj1ELb0ELb0EhEvPT3_jj.has_dyn_sized_stack, 0
	.set _Z15sort_key_kernelILj255ELj1ELb0ELb0EhEvPT3_jj.has_recursion, 0
	.set _Z15sort_key_kernelILj255ELj1ELb0ELb0EhEvPT3_jj.has_indirect_call, 0
	.section	.AMDGPU.csdata,"",@progbits
; Kernel info:
; codeLenInByte = 2672
; TotalNumSgprs: 44
; NumVgprs: 25
; ScratchSize: 0
; MemoryBound: 0
; FloatMode: 240
; IeeeMode: 1
; LDSByteSize: 8176 bytes/workgroup (compile time only)
; SGPRBlocks: 8
; VGPRBlocks: 7
; NumSGPRsForWavesPerEU: 65
; NumVGPRsForWavesPerEU: 29
; Occupancy: 8
; WaveLimiterHint : 0
; COMPUTE_PGM_RSRC2:SCRATCH_EN: 0
; COMPUTE_PGM_RSRC2:USER_SGPR: 6
; COMPUTE_PGM_RSRC2:TRAP_HANDLER: 0
; COMPUTE_PGM_RSRC2:TGID_X_EN: 1
; COMPUTE_PGM_RSRC2:TGID_Y_EN: 0
; COMPUTE_PGM_RSRC2:TGID_Z_EN: 0
; COMPUTE_PGM_RSRC2:TIDIG_COMP_CNT: 0
	.section	.text._Z15sort_key_kernelILj162ELj1ELb1ELb0EjEvPT3_jj,"axG",@progbits,_Z15sort_key_kernelILj162ELj1ELb1ELb0EjEvPT3_jj,comdat
	.protected	_Z15sort_key_kernelILj162ELj1ELb1ELb0EjEvPT3_jj ; -- Begin function _Z15sort_key_kernelILj162ELj1ELb1ELb0EjEvPT3_jj
	.globl	_Z15sort_key_kernelILj162ELj1ELb1ELb0EjEvPT3_jj
	.p2align	8
	.type	_Z15sort_key_kernelILj162ELj1ELb1ELb0EjEvPT3_jj,@function
_Z15sort_key_kernelILj162ELj1ELb1ELb0EjEvPT3_jj: ; @_Z15sort_key_kernelILj162ELj1ELb1ELb0EjEvPT3_jj
; %bb.0:
	s_load_dwordx4 s[36:39], s[4:5], 0x0
	s_mul_i32 s0, s6, 0xa2
	s_mov_b32 s1, 0
	s_lshl_b64 s[0:1], s[0:1], 2
	v_lshlrev_b32_e32 v15, 2, v0
	s_waitcnt lgkmcnt(0)
	s_add_u32 s0, s36, s0
	s_addc_u32 s1, s37, s1
	global_load_dword v16, v15, s[0:1]
	v_mov_b32_e32 v1, s1
	v_add_co_u32_e32 v9, vcc, s0, v15
	v_addc_co_u32_e32 v10, vcc, 0, v1, vcc
	v_mbcnt_lo_u32_b32 v1, -1, 0
	v_mbcnt_hi_u32_b32 v1, -1, v1
	v_and_b32_e32 v2, 15, v1
	v_cmp_eq_u32_e64 s[22:23], 0, v2
	v_cmp_lt_u32_e64 s[20:21], 1, v2
	v_cmp_lt_u32_e64 s[18:19], 3, v2
	;; [unrolled: 1-line block ×3, first 2 shown]
	v_and_b32_e32 v2, 16, v1
	s_cmp_eq_u32 s38, 0
	v_cmp_eq_u32_e64 s[14:15], 0, v2
	v_and_b32_e32 v2, 0xc0, v0
	s_cselect_b64 s[0:1], -1, 0
	s_cmp_eq_u32 s39, 32
	v_min_u32_e32 v2, 0x62, v2
	s_cselect_b64 s[2:3], -1, 0
	v_add_u32_e32 v2, 63, v2
	s_and_b64 s[26:27], s[0:1], s[2:3]
	v_cmp_eq_u32_e64 s[12:13], v0, v2
	v_subrev_co_u32_e64 v2, s[0:1], 1, v1
	v_and_b32_e32 v3, 64, v1
	v_cmp_lt_i32_e32 vcc, v2, v3
	v_cndmask_b32_e32 v2, v2, v1, vcc
	v_lshlrev_b32_e32 v13, 2, v2
	v_lshrrev_b32_e32 v2, 4, v0
	v_lshlrev_b32_e32 v11, 5, v0
	v_cmp_lt_u32_e64 s[10:11], 31, v1
	v_and_b32_e32 v14, 12, v2
	v_mul_i32_i24_e32 v2, 0xffffffe4, v0
	v_and_b32_e32 v1, 3, v1
	s_movk_i32 s33, 0xa2
	v_mov_b32_e32 v17, 0
	v_cmp_gt_u32_e64 s[4:5], 3, v0
	v_cmp_lt_u32_e64 s[2:3], 63, v0
	v_cmp_eq_u32_e64 s[8:9], 0, v1
	v_cmp_lt_u32_e64 s[6:7], 1, v1
	s_mov_b64 s[24:25], -1
	s_and_b64 vcc, exec, s[26:27]
	v_add_u32_e32 v12, v11, v2
	s_cbranch_vccz .LBB16_3
; %bb.1:
	s_and_b64 vcc, exec, s[24:25]
	s_cbranch_vccnz .LBB16_21
.LBB16_2:
	ds_read_b32 v0, v12
	s_waitcnt lgkmcnt(0)
	global_store_dword v[9:10], v0, off
	s_endpgm
.LBB16_3:
	s_movk_i32 s24, 0x3cc
	s_movk_i32 s26, 0x32a
	s_movk_i32 s28, 0x288
	s_movk_i32 s30, 0x1e6
	s_movk_i32 s34, 0x144
	s_sub_i32 s40, s39, s38
	v_cmp_gt_u32_e64 s[24:25], s24, v0
	v_cmp_gt_u32_e64 s[26:27], s26, v0
	;; [unrolled: 1-line block ×6, first 2 shown]
	v_mov_b32_e32 v18, s40
	v_mov_b32_e32 v19, 2
	s_waitcnt vmcnt(0)
	v_mov_b32_e32 v2, v16
	s_branch .LBB16_5
.LBB16_4:                               ;   in Loop: Header=BB16_5 Depth=1
	s_andn2_b64 vcc, exec, s[40:41]
	s_cbranch_vccz .LBB16_20
.LBB16_5:                               ; =>This Inner Loop Header: Depth=1
	v_mov_b32_e32 v20, v2
	ds_write2_b32 v15, v17, v17 offset1:162
	s_and_saveexec_b64 s[40:41], s[24:25]
	s_cbranch_execz .LBB16_12
; %bb.6:                                ;   in Loop: Header=BB16_5 Depth=1
	ds_write_b32 v15, v17 offset:1296
	s_and_b64 exec, exec, s[26:27]
	s_cbranch_execz .LBB16_12
; %bb.7:                                ;   in Loop: Header=BB16_5 Depth=1
	ds_write_b32 v15, v17 offset:1944
	s_and_b64 exec, exec, s[28:29]
	s_cbranch_execz .LBB16_12
; %bb.8:                                ;   in Loop: Header=BB16_5 Depth=1
	ds_write_b32 v15, v17 offset:2592
	s_and_b64 exec, exec, s[30:31]
	s_cbranch_execz .LBB16_12
; %bb.9:                                ;   in Loop: Header=BB16_5 Depth=1
	ds_write_b32 v15, v17 offset:3240
	s_and_b64 exec, exec, s[34:35]
	s_cbranch_execz .LBB16_12
; %bb.10:                               ;   in Loop: Header=BB16_5 Depth=1
	ds_write_b32 v15, v17 offset:3888
	s_and_b64 exec, exec, s[36:37]
; %bb.11:                               ;   in Loop: Header=BB16_5 Depth=1
	ds_write_b32 v15, v17 offset:4536
.LBB16_12:                              ;   in Loop: Header=BB16_5 Depth=1
	s_or_b64 exec, exec, s[40:41]
	v_min_u32_e32 v1, 4, v18
	v_lshrrev_b32_e32 v2, s38, v20
	v_bfe_u32 v1, v2, 0, v1
	v_and_b32_e32 v2, 7, v1
	v_lshrrev_b32_e32 v1, 2, v1
	v_mad_u32_u24 v2, v2, s33, v0
	v_and_b32_e32 v1, 30, v1
	v_lshl_add_u32 v22, v2, 2, v1
	ds_read_u16 v21, v22
	s_waitcnt lgkmcnt(0)
	v_add_u16_e32 v1, 1, v21
	ds_write_b16 v22, v1
	s_waitcnt lgkmcnt(0)
	s_barrier
	ds_read2_b64 v[5:8], v11 offset1:1
	ds_read2_b64 v[1:4], v11 offset0:2 offset1:3
	s_waitcnt lgkmcnt(1)
	v_add_u32_e32 v23, v6, v5
	v_add3_u32 v23, v23, v7, v8
	s_waitcnt lgkmcnt(0)
	v_add3_u32 v23, v23, v1, v2
	v_add3_u32 v4, v23, v3, v4
	s_nop 1
	v_mov_b32_dpp v23, v4 row_shr:1 row_mask:0xf bank_mask:0xf
	v_cndmask_b32_e64 v23, v23, 0, s[22:23]
	v_add_u32_e32 v4, v23, v4
	s_nop 1
	v_mov_b32_dpp v23, v4 row_shr:2 row_mask:0xf bank_mask:0xf
	v_cndmask_b32_e64 v23, 0, v23, s[20:21]
	v_add_u32_e32 v4, v4, v23
	;; [unrolled: 4-line block ×4, first 2 shown]
	s_nop 1
	v_mov_b32_dpp v23, v4 row_bcast:15 row_mask:0xf bank_mask:0xf
	v_cndmask_b32_e64 v23, v23, 0, s[14:15]
	v_add_u32_e32 v4, v4, v23
	s_nop 1
	v_mov_b32_dpp v23, v4 row_bcast:31 row_mask:0xf bank_mask:0xf
	v_cndmask_b32_e64 v23, 0, v23, s[10:11]
	v_add_u32_e32 v4, v4, v23
	s_and_saveexec_b64 s[40:41], s[12:13]
; %bb.13:                               ;   in Loop: Header=BB16_5 Depth=1
	ds_write_b32 v14, v4 offset:5184
; %bb.14:                               ;   in Loop: Header=BB16_5 Depth=1
	s_or_b64 exec, exec, s[40:41]
	s_waitcnt lgkmcnt(0)
	s_barrier
	s_and_saveexec_b64 s[40:41], s[4:5]
	s_cbranch_execz .LBB16_16
; %bb.15:                               ;   in Loop: Header=BB16_5 Depth=1
	ds_read_b32 v23, v12 offset:5184
	s_waitcnt lgkmcnt(0)
	s_nop 0
	v_mov_b32_dpp v24, v23 row_shr:1 row_mask:0xf bank_mask:0xf
	v_cndmask_b32_e64 v24, v24, 0, s[8:9]
	v_add_u32_e32 v23, v24, v23
	s_nop 1
	v_mov_b32_dpp v24, v23 row_shr:2 row_mask:0xf bank_mask:0xf
	v_cndmask_b32_e64 v24, 0, v24, s[6:7]
	v_add_u32_e32 v23, v23, v24
	ds_write_b32 v12, v23 offset:5184
.LBB16_16:                              ;   in Loop: Header=BB16_5 Depth=1
	s_or_b64 exec, exec, s[40:41]
	v_mov_b32_e32 v23, 0
	s_waitcnt lgkmcnt(0)
	s_barrier
	s_and_saveexec_b64 s[40:41], s[2:3]
; %bb.17:                               ;   in Loop: Header=BB16_5 Depth=1
	ds_read_b32 v23, v14 offset:5180
; %bb.18:                               ;   in Loop: Header=BB16_5 Depth=1
	s_or_b64 exec, exec, s[40:41]
	s_waitcnt lgkmcnt(0)
	v_add_u32_e32 v4, v23, v4
	ds_bpermute_b32 v4, v13, v4
	ds_read_b32 v24, v17 offset:5192
	s_add_i32 s38, s38, 4
	s_cmp_ge_u32 s38, s39
	s_mov_b64 s[40:41], -1
	s_waitcnt lgkmcnt(1)
	v_cndmask_b32_e64 v4, v4, v23, s[0:1]
	s_waitcnt lgkmcnt(0)
	v_lshl_add_u32 v4, v24, 16, v4
	v_add_u32_e32 v5, v4, v5
	v_add_u32_e32 v6, v5, v6
	;; [unrolled: 1-line block ×7, first 2 shown]
	ds_write2_b64 v11, v[4:5], v[6:7] offset1:1
	ds_write2_b64 v11, v[23:24], v[1:2] offset0:2 offset1:3
	s_waitcnt lgkmcnt(0)
	s_barrier
	ds_read_u16 v1, v22
	v_lshlrev_b32_sdwa v2, v19, v21 dst_sel:DWORD dst_unused:UNUSED_PAD src0_sel:DWORD src1_sel:WORD_0
	s_waitcnt lgkmcnt(0)
	v_lshl_add_u32 v1, v1, 2, v2
                                        ; implicit-def: $vgpr2
	s_cbranch_scc1 .LBB16_4
; %bb.19:                               ;   in Loop: Header=BB16_5 Depth=1
	s_barrier
	ds_write_b32 v1, v20
	s_waitcnt lgkmcnt(0)
	s_barrier
	ds_read_b32 v2, v12
	v_add_u32_e32 v18, -4, v18
	s_mov_b64 s[40:41], 0
	s_waitcnt lgkmcnt(0)
	s_barrier
	s_branch .LBB16_4
.LBB16_20:
	s_barrier
	ds_write_b32 v1, v20
	s_waitcnt lgkmcnt(0)
	s_barrier
	s_branch .LBB16_2
.LBB16_21:
	s_movk_i32 s24, 0x3cc
	v_mov_b32_e32 v1, 0
	v_cmp_gt_u32_e32 vcc, s24, v0
	ds_write2_b32 v12, v1, v1 offset1:162
	s_and_saveexec_b64 s[26:27], vcc
	s_cbranch_execz .LBB16_28
; %bb.22:
	s_movk_i32 s24, 0x32a
	v_cmp_gt_u32_e64 s[24:25], s24, v0
	ds_write_b32 v12, v1 offset:1296
	s_and_b64 exec, exec, s[24:25]
	s_cbranch_execz .LBB16_28
; %bb.23:
	s_movk_i32 s24, 0x288
	v_mov_b32_e32 v1, 0
	v_cmp_gt_u32_e64 s[24:25], s24, v0
	ds_write_b32 v12, v1 offset:1944
	s_and_b64 exec, exec, s[24:25]
	s_cbranch_execz .LBB16_28
; %bb.24:
	s_movk_i32 s24, 0x1e6
	v_cmp_gt_u32_e64 s[24:25], s24, v0
	ds_write_b32 v12, v1 offset:2592
	s_and_b64 exec, exec, s[24:25]
	s_cbranch_execz .LBB16_28
; %bb.25:
	s_movk_i32 s24, 0x144
	v_mov_b32_e32 v1, 0
	v_cmp_gt_u32_e64 s[24:25], s24, v0
	ds_write_b32 v12, v1 offset:3240
	s_and_b64 exec, exec, s[24:25]
	s_cbranch_execz .LBB16_28
; %bb.26:
	s_movk_i32 s24, 0xa2
	v_cmp_gt_u32_e64 s[24:25], s24, v0
	ds_write_b32 v12, v1 offset:3888
	s_and_b64 exec, exec, s[24:25]
; %bb.27:
	v_mov_b32_e32 v1, 0
	ds_write_b32 v12, v1 offset:4536
.LBB16_28:
	s_or_b64 exec, exec, s[26:27]
	s_waitcnt vmcnt(0)
	v_and_b32_e32 v1, 7, v16
	s_movk_i32 s24, 0xa2
	v_lshrrev_b32_e32 v2, 2, v16
	v_mad_u32_u24 v1, v1, s24, v0
	v_and_b32_e32 v2, 2, v2
	v_lshl_or_b32 v18, v1, 2, v2
	ds_read_u16 v17, v18
	s_waitcnt lgkmcnt(0)
	v_add_u16_e32 v1, 1, v17
	ds_write_b16 v18, v1
	s_waitcnt lgkmcnt(0)
	s_barrier
	ds_read2_b64 v[5:8], v11 offset1:1
	ds_read2_b64 v[1:4], v11 offset0:2 offset1:3
	s_waitcnt lgkmcnt(1)
	v_add_u32_e32 v19, v6, v5
	v_add3_u32 v19, v19, v7, v8
	s_waitcnt lgkmcnt(0)
	v_add3_u32 v19, v19, v1, v2
	v_add3_u32 v4, v19, v3, v4
	s_nop 1
	v_mov_b32_dpp v19, v4 row_shr:1 row_mask:0xf bank_mask:0xf
	v_cndmask_b32_e64 v19, v19, 0, s[22:23]
	v_add_u32_e32 v4, v19, v4
	s_nop 1
	v_mov_b32_dpp v19, v4 row_shr:2 row_mask:0xf bank_mask:0xf
	v_cndmask_b32_e64 v19, 0, v19, s[20:21]
	v_add_u32_e32 v4, v4, v19
	;; [unrolled: 4-line block ×4, first 2 shown]
	s_nop 1
	v_mov_b32_dpp v19, v4 row_bcast:15 row_mask:0xf bank_mask:0xf
	v_cndmask_b32_e64 v19, v19, 0, s[14:15]
	v_add_u32_e32 v4, v4, v19
	s_nop 1
	v_mov_b32_dpp v19, v4 row_bcast:31 row_mask:0xf bank_mask:0xf
	v_cndmask_b32_e64 v19, 0, v19, s[10:11]
	v_add_u32_e32 v19, v4, v19
	s_and_saveexec_b64 s[24:25], s[12:13]
; %bb.29:
	ds_write_b32 v14, v19 offset:5184
; %bb.30:
	s_or_b64 exec, exec, s[24:25]
	s_waitcnt lgkmcnt(0)
	s_barrier
	s_and_saveexec_b64 s[24:25], s[4:5]
	s_cbranch_execz .LBB16_32
; %bb.31:
	ds_read_b32 v4, v12 offset:5184
	s_waitcnt lgkmcnt(0)
	s_nop 0
	v_mov_b32_dpp v20, v4 row_shr:1 row_mask:0xf bank_mask:0xf
	v_cndmask_b32_e64 v20, v20, 0, s[8:9]
	v_add_u32_e32 v4, v20, v4
	s_nop 1
	v_mov_b32_dpp v20, v4 row_shr:2 row_mask:0xf bank_mask:0xf
	v_cndmask_b32_e64 v20, 0, v20, s[6:7]
	v_add_u32_e32 v4, v4, v20
	ds_write_b32 v12, v4 offset:5184
.LBB16_32:
	s_or_b64 exec, exec, s[24:25]
	v_mov_b32_e32 v4, 0
	v_mov_b32_e32 v20, 0
	s_waitcnt lgkmcnt(0)
	s_barrier
	s_and_saveexec_b64 s[24:25], s[2:3]
; %bb.33:
	ds_read_b32 v20, v14 offset:5180
; %bb.34:
	s_or_b64 exec, exec, s[24:25]
	s_waitcnt lgkmcnt(0)
	v_add_u32_e32 v19, v20, v19
	ds_bpermute_b32 v19, v13, v19
	ds_read_b32 v21, v4 offset:5192
	s_waitcnt lgkmcnt(1)
	v_cndmask_b32_e64 v19, v19, v20, s[0:1]
	s_waitcnt lgkmcnt(0)
	v_lshl_add_u32 v19, v21, 16, v19
	v_add_u32_e32 v20, v19, v5
	v_add_u32_e32 v5, v20, v6
	;; [unrolled: 1-line block ×7, first 2 shown]
	ds_write2_b64 v11, v[19:20], v[5:6] offset1:1
	ds_write2_b64 v11, v[7:8], v[1:2] offset0:2 offset1:3
	s_waitcnt lgkmcnt(0)
	s_barrier
	ds_read_u16 v1, v18
	v_mov_b32_e32 v2, 2
	v_lshlrev_b32_sdwa v2, v2, v17 dst_sel:DWORD dst_unused:UNUSED_PAD src0_sel:DWORD src1_sel:WORD_0
	s_waitcnt lgkmcnt(0)
	s_barrier
	v_lshl_add_u32 v1, v1, 2, v2
	ds_write_b32 v1, v16
	s_waitcnt lgkmcnt(0)
	s_barrier
	ds_read_b32 v16, v12
	s_waitcnt lgkmcnt(0)
	s_barrier
	ds_write2_b32 v15, v4, v4 offset1:162
	s_and_saveexec_b64 s[26:27], vcc
	s_cbranch_execz .LBB16_41
; %bb.35:
	s_movk_i32 s24, 0x32a
	v_mov_b32_e32 v1, 0
	v_cmp_gt_u32_e64 s[24:25], s24, v0
	ds_write_b32 v15, v1 offset:1296
	s_and_b64 exec, exec, s[24:25]
	s_cbranch_execz .LBB16_41
; %bb.36:
	s_movk_i32 s24, 0x288
	v_cmp_gt_u32_e64 s[24:25], s24, v0
	ds_write_b32 v15, v1 offset:1944
	s_and_b64 exec, exec, s[24:25]
	s_cbranch_execz .LBB16_41
; %bb.37:
	s_movk_i32 s24, 0x1e6
	v_mov_b32_e32 v1, 0
	v_cmp_gt_u32_e64 s[24:25], s24, v0
	ds_write_b32 v15, v1 offset:2592
	s_and_b64 exec, exec, s[24:25]
	s_cbranch_execz .LBB16_41
; %bb.38:
	s_movk_i32 s24, 0x144
	v_cmp_gt_u32_e64 s[24:25], s24, v0
	ds_write_b32 v15, v1 offset:3240
	s_and_b64 exec, exec, s[24:25]
	s_cbranch_execz .LBB16_41
; %bb.39:
	s_movk_i32 s24, 0xa2
	v_mov_b32_e32 v1, 0
	v_cmp_gt_u32_e64 s[24:25], s24, v0
	ds_write_b32 v15, v1 offset:3888
	s_and_b64 exec, exec, s[24:25]
; %bb.40:
	ds_write_b32 v15, v1 offset:4536
.LBB16_41:
	s_or_b64 exec, exec, s[26:27]
	v_bfe_u32 v1, v16, 4, 3
	s_movk_i32 s24, 0xa2
	v_lshrrev_b32_e32 v2, 6, v16
	v_mad_u32_u24 v1, v1, s24, v0
	v_and_b32_e32 v2, 2, v2
	v_lshl_or_b32 v18, v1, 2, v2
	ds_read_u16 v17, v18
	s_waitcnt lgkmcnt(0)
	v_add_u16_e32 v1, 1, v17
	ds_write_b16 v18, v1
	s_waitcnt lgkmcnt(0)
	s_barrier
	ds_read2_b64 v[5:8], v11 offset1:1
	ds_read2_b64 v[1:4], v11 offset0:2 offset1:3
	s_waitcnt lgkmcnt(1)
	v_add_u32_e32 v19, v6, v5
	v_add3_u32 v19, v19, v7, v8
	s_waitcnt lgkmcnt(0)
	v_add3_u32 v19, v19, v1, v2
	v_add3_u32 v4, v19, v3, v4
	s_nop 1
	v_mov_b32_dpp v19, v4 row_shr:1 row_mask:0xf bank_mask:0xf
	v_cndmask_b32_e64 v19, v19, 0, s[22:23]
	v_add_u32_e32 v4, v19, v4
	s_nop 1
	v_mov_b32_dpp v19, v4 row_shr:2 row_mask:0xf bank_mask:0xf
	v_cndmask_b32_e64 v19, 0, v19, s[20:21]
	v_add_u32_e32 v4, v4, v19
	;; [unrolled: 4-line block ×4, first 2 shown]
	s_nop 1
	v_mov_b32_dpp v19, v4 row_bcast:15 row_mask:0xf bank_mask:0xf
	v_cndmask_b32_e64 v19, v19, 0, s[14:15]
	v_add_u32_e32 v4, v4, v19
	s_nop 1
	v_mov_b32_dpp v19, v4 row_bcast:31 row_mask:0xf bank_mask:0xf
	v_cndmask_b32_e64 v19, 0, v19, s[10:11]
	v_add_u32_e32 v19, v4, v19
	s_and_saveexec_b64 s[24:25], s[12:13]
; %bb.42:
	ds_write_b32 v14, v19 offset:5184
; %bb.43:
	s_or_b64 exec, exec, s[24:25]
	s_waitcnt lgkmcnt(0)
	s_barrier
	s_and_saveexec_b64 s[24:25], s[4:5]
	s_cbranch_execz .LBB16_45
; %bb.44:
	ds_read_b32 v4, v12 offset:5184
	s_waitcnt lgkmcnt(0)
	s_nop 0
	v_mov_b32_dpp v20, v4 row_shr:1 row_mask:0xf bank_mask:0xf
	v_cndmask_b32_e64 v20, v20, 0, s[8:9]
	v_add_u32_e32 v4, v20, v4
	s_nop 1
	v_mov_b32_dpp v20, v4 row_shr:2 row_mask:0xf bank_mask:0xf
	v_cndmask_b32_e64 v20, 0, v20, s[6:7]
	v_add_u32_e32 v4, v4, v20
	ds_write_b32 v12, v4 offset:5184
.LBB16_45:
	s_or_b64 exec, exec, s[24:25]
	v_mov_b32_e32 v4, 0
	v_mov_b32_e32 v20, 0
	s_waitcnt lgkmcnt(0)
	s_barrier
	s_and_saveexec_b64 s[24:25], s[2:3]
; %bb.46:
	ds_read_b32 v20, v14 offset:5180
; %bb.47:
	s_or_b64 exec, exec, s[24:25]
	s_waitcnt lgkmcnt(0)
	v_add_u32_e32 v19, v20, v19
	ds_bpermute_b32 v19, v13, v19
	ds_read_b32 v21, v4 offset:5192
	s_waitcnt lgkmcnt(1)
	v_cndmask_b32_e64 v19, v19, v20, s[0:1]
	s_waitcnt lgkmcnt(0)
	v_lshl_add_u32 v19, v21, 16, v19
	v_add_u32_e32 v20, v19, v5
	v_add_u32_e32 v5, v20, v6
	;; [unrolled: 1-line block ×7, first 2 shown]
	ds_write2_b64 v11, v[19:20], v[5:6] offset1:1
	ds_write2_b64 v11, v[7:8], v[1:2] offset0:2 offset1:3
	s_waitcnt lgkmcnt(0)
	s_barrier
	ds_read_u16 v1, v18
	v_mov_b32_e32 v2, 2
	v_lshlrev_b32_sdwa v2, v2, v17 dst_sel:DWORD dst_unused:UNUSED_PAD src0_sel:DWORD src1_sel:WORD_0
	s_waitcnt lgkmcnt(0)
	s_barrier
	v_lshl_add_u32 v1, v1, 2, v2
	ds_write_b32 v1, v16
	s_waitcnt lgkmcnt(0)
	s_barrier
	ds_read_b32 v16, v12
	s_waitcnt lgkmcnt(0)
	s_barrier
	ds_write2_b32 v15, v4, v4 offset1:162
	s_and_saveexec_b64 s[26:27], vcc
	s_cbranch_execz .LBB16_54
; %bb.48:
	s_movk_i32 s24, 0x32a
	v_mov_b32_e32 v1, 0
	v_cmp_gt_u32_e64 s[24:25], s24, v0
	ds_write_b32 v15, v1 offset:1296
	s_and_b64 exec, exec, s[24:25]
	s_cbranch_execz .LBB16_54
; %bb.49:
	s_movk_i32 s24, 0x288
	v_cmp_gt_u32_e64 s[24:25], s24, v0
	ds_write_b32 v15, v1 offset:1944
	s_and_b64 exec, exec, s[24:25]
	s_cbranch_execz .LBB16_54
; %bb.50:
	s_movk_i32 s24, 0x1e6
	v_mov_b32_e32 v1, 0
	v_cmp_gt_u32_e64 s[24:25], s24, v0
	ds_write_b32 v15, v1 offset:2592
	s_and_b64 exec, exec, s[24:25]
	s_cbranch_execz .LBB16_54
; %bb.51:
	s_movk_i32 s24, 0x144
	v_cmp_gt_u32_e64 s[24:25], s24, v0
	ds_write_b32 v15, v1 offset:3240
	s_and_b64 exec, exec, s[24:25]
	s_cbranch_execz .LBB16_54
; %bb.52:
	s_movk_i32 s24, 0xa2
	v_mov_b32_e32 v1, 0
	v_cmp_gt_u32_e64 s[24:25], s24, v0
	ds_write_b32 v15, v1 offset:3888
	s_and_b64 exec, exec, s[24:25]
; %bb.53:
	ds_write_b32 v15, v1 offset:4536
.LBB16_54:
	s_or_b64 exec, exec, s[26:27]
	v_bfe_u32 v1, v16, 8, 3
	s_movk_i32 s24, 0xa2
	v_lshrrev_b32_e32 v2, 10, v16
	v_mad_u32_u24 v1, v1, s24, v0
	v_and_b32_e32 v2, 2, v2
	v_lshl_or_b32 v18, v1, 2, v2
	ds_read_u16 v17, v18
	s_waitcnt lgkmcnt(0)
	v_add_u16_e32 v1, 1, v17
	ds_write_b16 v18, v1
	s_waitcnt lgkmcnt(0)
	s_barrier
	ds_read2_b64 v[5:8], v11 offset1:1
	ds_read2_b64 v[1:4], v11 offset0:2 offset1:3
	s_waitcnt lgkmcnt(1)
	v_add_u32_e32 v19, v6, v5
	v_add3_u32 v19, v19, v7, v8
	s_waitcnt lgkmcnt(0)
	v_add3_u32 v19, v19, v1, v2
	v_add3_u32 v4, v19, v3, v4
	s_nop 1
	v_mov_b32_dpp v19, v4 row_shr:1 row_mask:0xf bank_mask:0xf
	v_cndmask_b32_e64 v19, v19, 0, s[22:23]
	v_add_u32_e32 v4, v19, v4
	s_nop 1
	v_mov_b32_dpp v19, v4 row_shr:2 row_mask:0xf bank_mask:0xf
	v_cndmask_b32_e64 v19, 0, v19, s[20:21]
	v_add_u32_e32 v4, v4, v19
	;; [unrolled: 4-line block ×4, first 2 shown]
	s_nop 1
	v_mov_b32_dpp v19, v4 row_bcast:15 row_mask:0xf bank_mask:0xf
	v_cndmask_b32_e64 v19, v19, 0, s[14:15]
	v_add_u32_e32 v4, v4, v19
	s_nop 1
	v_mov_b32_dpp v19, v4 row_bcast:31 row_mask:0xf bank_mask:0xf
	v_cndmask_b32_e64 v19, 0, v19, s[10:11]
	v_add_u32_e32 v19, v4, v19
	s_and_saveexec_b64 s[24:25], s[12:13]
; %bb.55:
	ds_write_b32 v14, v19 offset:5184
; %bb.56:
	s_or_b64 exec, exec, s[24:25]
	s_waitcnt lgkmcnt(0)
	s_barrier
	s_and_saveexec_b64 s[24:25], s[4:5]
	s_cbranch_execz .LBB16_58
; %bb.57:
	ds_read_b32 v4, v12 offset:5184
	s_waitcnt lgkmcnt(0)
	s_nop 0
	v_mov_b32_dpp v20, v4 row_shr:1 row_mask:0xf bank_mask:0xf
	v_cndmask_b32_e64 v20, v20, 0, s[8:9]
	v_add_u32_e32 v4, v20, v4
	s_nop 1
	v_mov_b32_dpp v20, v4 row_shr:2 row_mask:0xf bank_mask:0xf
	v_cndmask_b32_e64 v20, 0, v20, s[6:7]
	v_add_u32_e32 v4, v4, v20
	ds_write_b32 v12, v4 offset:5184
.LBB16_58:
	s_or_b64 exec, exec, s[24:25]
	v_mov_b32_e32 v4, 0
	v_mov_b32_e32 v20, 0
	s_waitcnt lgkmcnt(0)
	s_barrier
	s_and_saveexec_b64 s[24:25], s[2:3]
; %bb.59:
	ds_read_b32 v20, v14 offset:5180
; %bb.60:
	s_or_b64 exec, exec, s[24:25]
	s_waitcnt lgkmcnt(0)
	v_add_u32_e32 v19, v20, v19
	ds_bpermute_b32 v19, v13, v19
	ds_read_b32 v21, v4 offset:5192
	s_waitcnt lgkmcnt(1)
	v_cndmask_b32_e64 v19, v19, v20, s[0:1]
	s_waitcnt lgkmcnt(0)
	v_lshl_add_u32 v19, v21, 16, v19
	v_add_u32_e32 v20, v19, v5
	v_add_u32_e32 v5, v20, v6
	;; [unrolled: 1-line block ×7, first 2 shown]
	ds_write2_b64 v11, v[19:20], v[5:6] offset1:1
	ds_write2_b64 v11, v[7:8], v[1:2] offset0:2 offset1:3
	s_waitcnt lgkmcnt(0)
	s_barrier
	ds_read_u16 v1, v18
	v_mov_b32_e32 v2, 2
	v_lshlrev_b32_sdwa v2, v2, v17 dst_sel:DWORD dst_unused:UNUSED_PAD src0_sel:DWORD src1_sel:WORD_0
	s_waitcnt lgkmcnt(0)
	s_barrier
	v_lshl_add_u32 v1, v1, 2, v2
	ds_write_b32 v1, v16
	s_waitcnt lgkmcnt(0)
	s_barrier
	ds_read_b32 v16, v12
	s_waitcnt lgkmcnt(0)
	s_barrier
	ds_write2_b32 v15, v4, v4 offset1:162
	s_and_saveexec_b64 s[26:27], vcc
	s_cbranch_execz .LBB16_67
; %bb.61:
	s_movk_i32 s24, 0x32a
	v_mov_b32_e32 v1, 0
	v_cmp_gt_u32_e64 s[24:25], s24, v0
	ds_write_b32 v15, v1 offset:1296
	s_and_b64 exec, exec, s[24:25]
	s_cbranch_execz .LBB16_67
; %bb.62:
	s_movk_i32 s24, 0x288
	v_cmp_gt_u32_e64 s[24:25], s24, v0
	ds_write_b32 v15, v1 offset:1944
	s_and_b64 exec, exec, s[24:25]
	s_cbranch_execz .LBB16_67
; %bb.63:
	s_movk_i32 s24, 0x1e6
	v_mov_b32_e32 v1, 0
	v_cmp_gt_u32_e64 s[24:25], s24, v0
	ds_write_b32 v15, v1 offset:2592
	s_and_b64 exec, exec, s[24:25]
	s_cbranch_execz .LBB16_67
; %bb.64:
	s_movk_i32 s24, 0x144
	v_cmp_gt_u32_e64 s[24:25], s24, v0
	ds_write_b32 v15, v1 offset:3240
	s_and_b64 exec, exec, s[24:25]
	s_cbranch_execz .LBB16_67
; %bb.65:
	s_movk_i32 s24, 0xa2
	v_mov_b32_e32 v1, 0
	v_cmp_gt_u32_e64 s[24:25], s24, v0
	ds_write_b32 v15, v1 offset:3888
	s_and_b64 exec, exec, s[24:25]
; %bb.66:
	ds_write_b32 v15, v1 offset:4536
.LBB16_67:
	s_or_b64 exec, exec, s[26:27]
	v_bfe_u32 v1, v16, 12, 3
	s_movk_i32 s24, 0xa2
	v_lshrrev_b32_e32 v2, 14, v16
	v_mad_u32_u24 v1, v1, s24, v0
	v_and_b32_e32 v2, 2, v2
	v_lshl_or_b32 v18, v1, 2, v2
	ds_read_u16 v17, v18
	s_waitcnt lgkmcnt(0)
	v_add_u16_e32 v1, 1, v17
	ds_write_b16 v18, v1
	s_waitcnt lgkmcnt(0)
	s_barrier
	ds_read2_b64 v[5:8], v11 offset1:1
	ds_read2_b64 v[1:4], v11 offset0:2 offset1:3
	s_waitcnt lgkmcnt(1)
	v_add_u32_e32 v19, v6, v5
	v_add3_u32 v19, v19, v7, v8
	s_waitcnt lgkmcnt(0)
	v_add3_u32 v19, v19, v1, v2
	v_add3_u32 v4, v19, v3, v4
	s_nop 1
	v_mov_b32_dpp v19, v4 row_shr:1 row_mask:0xf bank_mask:0xf
	v_cndmask_b32_e64 v19, v19, 0, s[22:23]
	v_add_u32_e32 v4, v19, v4
	s_nop 1
	v_mov_b32_dpp v19, v4 row_shr:2 row_mask:0xf bank_mask:0xf
	v_cndmask_b32_e64 v19, 0, v19, s[20:21]
	v_add_u32_e32 v4, v4, v19
	;; [unrolled: 4-line block ×4, first 2 shown]
	s_nop 1
	v_mov_b32_dpp v19, v4 row_bcast:15 row_mask:0xf bank_mask:0xf
	v_cndmask_b32_e64 v19, v19, 0, s[14:15]
	v_add_u32_e32 v4, v4, v19
	s_nop 1
	v_mov_b32_dpp v19, v4 row_bcast:31 row_mask:0xf bank_mask:0xf
	v_cndmask_b32_e64 v19, 0, v19, s[10:11]
	v_add_u32_e32 v19, v4, v19
	s_and_saveexec_b64 s[24:25], s[12:13]
; %bb.68:
	ds_write_b32 v14, v19 offset:5184
; %bb.69:
	s_or_b64 exec, exec, s[24:25]
	s_waitcnt lgkmcnt(0)
	s_barrier
	s_and_saveexec_b64 s[24:25], s[4:5]
	s_cbranch_execz .LBB16_71
; %bb.70:
	ds_read_b32 v4, v12 offset:5184
	s_waitcnt lgkmcnt(0)
	s_nop 0
	v_mov_b32_dpp v20, v4 row_shr:1 row_mask:0xf bank_mask:0xf
	v_cndmask_b32_e64 v20, v20, 0, s[8:9]
	v_add_u32_e32 v4, v20, v4
	s_nop 1
	v_mov_b32_dpp v20, v4 row_shr:2 row_mask:0xf bank_mask:0xf
	v_cndmask_b32_e64 v20, 0, v20, s[6:7]
	v_add_u32_e32 v4, v4, v20
	ds_write_b32 v12, v4 offset:5184
.LBB16_71:
	s_or_b64 exec, exec, s[24:25]
	v_mov_b32_e32 v4, 0
	v_mov_b32_e32 v20, 0
	s_waitcnt lgkmcnt(0)
	s_barrier
	s_and_saveexec_b64 s[24:25], s[2:3]
; %bb.72:
	ds_read_b32 v20, v14 offset:5180
; %bb.73:
	s_or_b64 exec, exec, s[24:25]
	s_waitcnt lgkmcnt(0)
	v_add_u32_e32 v19, v20, v19
	ds_bpermute_b32 v19, v13, v19
	ds_read_b32 v21, v4 offset:5192
	s_waitcnt lgkmcnt(1)
	v_cndmask_b32_e64 v19, v19, v20, s[0:1]
	s_waitcnt lgkmcnt(0)
	v_lshl_add_u32 v19, v21, 16, v19
	v_add_u32_e32 v20, v19, v5
	v_add_u32_e32 v5, v20, v6
	v_add_u32_e32 v6, v5, v7
	v_add_u32_e32 v7, v6, v8
	v_add_u32_e32 v8, v7, v1
	v_add_u32_e32 v1, v8, v2
	v_add_u32_e32 v2, v1, v3
	ds_write2_b64 v11, v[19:20], v[5:6] offset1:1
	ds_write2_b64 v11, v[7:8], v[1:2] offset0:2 offset1:3
	s_waitcnt lgkmcnt(0)
	s_barrier
	ds_read_u16 v1, v18
	v_mov_b32_e32 v2, 2
	v_lshlrev_b32_sdwa v2, v2, v17 dst_sel:DWORD dst_unused:UNUSED_PAD src0_sel:DWORD src1_sel:WORD_0
	s_waitcnt lgkmcnt(0)
	s_barrier
	v_lshl_add_u32 v1, v1, 2, v2
	ds_write_b32 v1, v16
	s_waitcnt lgkmcnt(0)
	s_barrier
	ds_read_b32 v16, v12
	s_waitcnt lgkmcnt(0)
	s_barrier
	ds_write2_b32 v15, v4, v4 offset1:162
	s_and_saveexec_b64 s[26:27], vcc
	s_cbranch_execz .LBB16_80
; %bb.74:
	s_movk_i32 s24, 0x32a
	v_mov_b32_e32 v1, 0
	v_cmp_gt_u32_e64 s[24:25], s24, v0
	ds_write_b32 v15, v1 offset:1296
	s_and_b64 exec, exec, s[24:25]
	s_cbranch_execz .LBB16_80
; %bb.75:
	s_movk_i32 s24, 0x288
	v_cmp_gt_u32_e64 s[24:25], s24, v0
	ds_write_b32 v15, v1 offset:1944
	s_and_b64 exec, exec, s[24:25]
	s_cbranch_execz .LBB16_80
; %bb.76:
	s_movk_i32 s24, 0x1e6
	v_mov_b32_e32 v1, 0
	v_cmp_gt_u32_e64 s[24:25], s24, v0
	ds_write_b32 v15, v1 offset:2592
	s_and_b64 exec, exec, s[24:25]
	s_cbranch_execz .LBB16_80
; %bb.77:
	s_movk_i32 s24, 0x144
	v_cmp_gt_u32_e64 s[24:25], s24, v0
	ds_write_b32 v15, v1 offset:3240
	s_and_b64 exec, exec, s[24:25]
	s_cbranch_execz .LBB16_80
; %bb.78:
	s_movk_i32 s24, 0xa2
	v_mov_b32_e32 v1, 0
	v_cmp_gt_u32_e64 s[24:25], s24, v0
	ds_write_b32 v15, v1 offset:3888
	s_and_b64 exec, exec, s[24:25]
; %bb.79:
	ds_write_b32 v15, v1 offset:4536
.LBB16_80:
	s_or_b64 exec, exec, s[26:27]
	v_bfe_u32 v1, v16, 16, 3
	s_movk_i32 s24, 0xa2
	v_lshrrev_b32_e32 v2, 18, v16
	v_mad_u32_u24 v1, v1, s24, v0
	v_and_b32_e32 v2, 2, v2
	v_lshl_or_b32 v18, v1, 2, v2
	ds_read_u16 v17, v18
	s_waitcnt lgkmcnt(0)
	v_add_u16_e32 v1, 1, v17
	ds_write_b16 v18, v1
	s_waitcnt lgkmcnt(0)
	s_barrier
	ds_read2_b64 v[5:8], v11 offset1:1
	ds_read2_b64 v[1:4], v11 offset0:2 offset1:3
	s_waitcnt lgkmcnt(1)
	v_add_u32_e32 v19, v6, v5
	v_add3_u32 v19, v19, v7, v8
	s_waitcnt lgkmcnt(0)
	v_add3_u32 v19, v19, v1, v2
	v_add3_u32 v4, v19, v3, v4
	s_nop 1
	v_mov_b32_dpp v19, v4 row_shr:1 row_mask:0xf bank_mask:0xf
	v_cndmask_b32_e64 v19, v19, 0, s[22:23]
	v_add_u32_e32 v4, v19, v4
	s_nop 1
	v_mov_b32_dpp v19, v4 row_shr:2 row_mask:0xf bank_mask:0xf
	v_cndmask_b32_e64 v19, 0, v19, s[20:21]
	v_add_u32_e32 v4, v4, v19
	;; [unrolled: 4-line block ×4, first 2 shown]
	s_nop 1
	v_mov_b32_dpp v19, v4 row_bcast:15 row_mask:0xf bank_mask:0xf
	v_cndmask_b32_e64 v19, v19, 0, s[14:15]
	v_add_u32_e32 v4, v4, v19
	s_nop 1
	v_mov_b32_dpp v19, v4 row_bcast:31 row_mask:0xf bank_mask:0xf
	v_cndmask_b32_e64 v19, 0, v19, s[10:11]
	v_add_u32_e32 v19, v4, v19
	s_and_saveexec_b64 s[24:25], s[12:13]
; %bb.81:
	ds_write_b32 v14, v19 offset:5184
; %bb.82:
	s_or_b64 exec, exec, s[24:25]
	s_waitcnt lgkmcnt(0)
	s_barrier
	s_and_saveexec_b64 s[24:25], s[4:5]
	s_cbranch_execz .LBB16_84
; %bb.83:
	ds_read_b32 v4, v12 offset:5184
	s_waitcnt lgkmcnt(0)
	s_nop 0
	v_mov_b32_dpp v20, v4 row_shr:1 row_mask:0xf bank_mask:0xf
	v_cndmask_b32_e64 v20, v20, 0, s[8:9]
	v_add_u32_e32 v4, v20, v4
	s_nop 1
	v_mov_b32_dpp v20, v4 row_shr:2 row_mask:0xf bank_mask:0xf
	v_cndmask_b32_e64 v20, 0, v20, s[6:7]
	v_add_u32_e32 v4, v4, v20
	ds_write_b32 v12, v4 offset:5184
.LBB16_84:
	s_or_b64 exec, exec, s[24:25]
	v_mov_b32_e32 v4, 0
	v_mov_b32_e32 v20, 0
	s_waitcnt lgkmcnt(0)
	s_barrier
	s_and_saveexec_b64 s[24:25], s[2:3]
; %bb.85:
	ds_read_b32 v20, v14 offset:5180
; %bb.86:
	s_or_b64 exec, exec, s[24:25]
	s_waitcnt lgkmcnt(0)
	v_add_u32_e32 v19, v20, v19
	ds_bpermute_b32 v19, v13, v19
	ds_read_b32 v21, v4 offset:5192
	s_waitcnt lgkmcnt(1)
	v_cndmask_b32_e64 v19, v19, v20, s[0:1]
	s_waitcnt lgkmcnt(0)
	v_lshl_add_u32 v19, v21, 16, v19
	v_add_u32_e32 v20, v19, v5
	v_add_u32_e32 v5, v20, v6
	;; [unrolled: 1-line block ×7, first 2 shown]
	ds_write2_b64 v11, v[19:20], v[5:6] offset1:1
	ds_write2_b64 v11, v[7:8], v[1:2] offset0:2 offset1:3
	s_waitcnt lgkmcnt(0)
	s_barrier
	ds_read_u16 v1, v18
	v_mov_b32_e32 v2, 2
	v_lshlrev_b32_sdwa v2, v2, v17 dst_sel:DWORD dst_unused:UNUSED_PAD src0_sel:DWORD src1_sel:WORD_0
	s_waitcnt lgkmcnt(0)
	s_barrier
	v_lshl_add_u32 v1, v1, 2, v2
	ds_write_b32 v1, v16
	s_waitcnt lgkmcnt(0)
	s_barrier
	ds_read_b32 v16, v12
	s_waitcnt lgkmcnt(0)
	s_barrier
	ds_write2_b32 v15, v4, v4 offset1:162
	s_and_saveexec_b64 s[26:27], vcc
	s_cbranch_execz .LBB16_93
; %bb.87:
	s_movk_i32 s24, 0x32a
	v_mov_b32_e32 v1, 0
	v_cmp_gt_u32_e64 s[24:25], s24, v0
	ds_write_b32 v15, v1 offset:1296
	s_and_b64 exec, exec, s[24:25]
	s_cbranch_execz .LBB16_93
; %bb.88:
	s_movk_i32 s24, 0x288
	v_cmp_gt_u32_e64 s[24:25], s24, v0
	ds_write_b32 v15, v1 offset:1944
	s_and_b64 exec, exec, s[24:25]
	s_cbranch_execz .LBB16_93
; %bb.89:
	s_movk_i32 s24, 0x1e6
	v_mov_b32_e32 v1, 0
	v_cmp_gt_u32_e64 s[24:25], s24, v0
	ds_write_b32 v15, v1 offset:2592
	s_and_b64 exec, exec, s[24:25]
	s_cbranch_execz .LBB16_93
; %bb.90:
	s_movk_i32 s24, 0x144
	v_cmp_gt_u32_e64 s[24:25], s24, v0
	ds_write_b32 v15, v1 offset:3240
	s_and_b64 exec, exec, s[24:25]
	s_cbranch_execz .LBB16_93
; %bb.91:
	s_movk_i32 s24, 0xa2
	v_mov_b32_e32 v1, 0
	v_cmp_gt_u32_e64 s[24:25], s24, v0
	ds_write_b32 v15, v1 offset:3888
	s_and_b64 exec, exec, s[24:25]
; %bb.92:
	ds_write_b32 v15, v1 offset:4536
.LBB16_93:
	s_or_b64 exec, exec, s[26:27]
	v_bfe_u32 v1, v16, 20, 3
	s_movk_i32 s24, 0xa2
	v_lshrrev_b32_e32 v2, 22, v16
	v_mad_u32_u24 v1, v1, s24, v0
	v_and_b32_e32 v2, 2, v2
	v_lshl_or_b32 v18, v1, 2, v2
	ds_read_u16 v17, v18
	s_waitcnt lgkmcnt(0)
	v_add_u16_e32 v1, 1, v17
	ds_write_b16 v18, v1
	s_waitcnt lgkmcnt(0)
	s_barrier
	ds_read2_b64 v[5:8], v11 offset1:1
	ds_read2_b64 v[1:4], v11 offset0:2 offset1:3
	s_waitcnt lgkmcnt(1)
	v_add_u32_e32 v19, v6, v5
	v_add3_u32 v19, v19, v7, v8
	s_waitcnt lgkmcnt(0)
	v_add3_u32 v19, v19, v1, v2
	v_add3_u32 v4, v19, v3, v4
	s_nop 1
	v_mov_b32_dpp v19, v4 row_shr:1 row_mask:0xf bank_mask:0xf
	v_cndmask_b32_e64 v19, v19, 0, s[22:23]
	v_add_u32_e32 v4, v19, v4
	s_nop 1
	v_mov_b32_dpp v19, v4 row_shr:2 row_mask:0xf bank_mask:0xf
	v_cndmask_b32_e64 v19, 0, v19, s[20:21]
	v_add_u32_e32 v4, v4, v19
	;; [unrolled: 4-line block ×4, first 2 shown]
	s_nop 1
	v_mov_b32_dpp v19, v4 row_bcast:15 row_mask:0xf bank_mask:0xf
	v_cndmask_b32_e64 v19, v19, 0, s[14:15]
	v_add_u32_e32 v4, v4, v19
	s_nop 1
	v_mov_b32_dpp v19, v4 row_bcast:31 row_mask:0xf bank_mask:0xf
	v_cndmask_b32_e64 v19, 0, v19, s[10:11]
	v_add_u32_e32 v19, v4, v19
	s_and_saveexec_b64 s[24:25], s[12:13]
; %bb.94:
	ds_write_b32 v14, v19 offset:5184
; %bb.95:
	s_or_b64 exec, exec, s[24:25]
	s_waitcnt lgkmcnt(0)
	s_barrier
	s_and_saveexec_b64 s[24:25], s[4:5]
	s_cbranch_execz .LBB16_97
; %bb.96:
	ds_read_b32 v4, v12 offset:5184
	s_waitcnt lgkmcnt(0)
	s_nop 0
	v_mov_b32_dpp v20, v4 row_shr:1 row_mask:0xf bank_mask:0xf
	v_cndmask_b32_e64 v20, v20, 0, s[8:9]
	v_add_u32_e32 v4, v20, v4
	s_nop 1
	v_mov_b32_dpp v20, v4 row_shr:2 row_mask:0xf bank_mask:0xf
	v_cndmask_b32_e64 v20, 0, v20, s[6:7]
	v_add_u32_e32 v4, v4, v20
	ds_write_b32 v12, v4 offset:5184
.LBB16_97:
	s_or_b64 exec, exec, s[24:25]
	v_mov_b32_e32 v4, 0
	v_mov_b32_e32 v20, 0
	s_waitcnt lgkmcnt(0)
	s_barrier
	s_and_saveexec_b64 s[24:25], s[2:3]
; %bb.98:
	ds_read_b32 v20, v14 offset:5180
; %bb.99:
	s_or_b64 exec, exec, s[24:25]
	s_waitcnt lgkmcnt(0)
	v_add_u32_e32 v19, v20, v19
	ds_bpermute_b32 v19, v13, v19
	ds_read_b32 v21, v4 offset:5192
	s_waitcnt lgkmcnt(1)
	v_cndmask_b32_e64 v19, v19, v20, s[0:1]
	s_waitcnt lgkmcnt(0)
	v_lshl_add_u32 v19, v21, 16, v19
	v_add_u32_e32 v20, v19, v5
	v_add_u32_e32 v5, v20, v6
	;; [unrolled: 1-line block ×7, first 2 shown]
	ds_write2_b64 v11, v[19:20], v[5:6] offset1:1
	ds_write2_b64 v11, v[7:8], v[1:2] offset0:2 offset1:3
	s_waitcnt lgkmcnt(0)
	s_barrier
	ds_read_u16 v1, v18
	v_mov_b32_e32 v2, 2
	v_lshlrev_b32_sdwa v2, v2, v17 dst_sel:DWORD dst_unused:UNUSED_PAD src0_sel:DWORD src1_sel:WORD_0
	s_waitcnt lgkmcnt(0)
	s_barrier
	v_lshl_add_u32 v1, v1, 2, v2
	ds_write_b32 v1, v16
	s_waitcnt lgkmcnt(0)
	s_barrier
	ds_read_b32 v16, v12
	s_waitcnt lgkmcnt(0)
	s_barrier
	ds_write2_b32 v15, v4, v4 offset1:162
	s_and_saveexec_b64 s[26:27], vcc
	s_cbranch_execz .LBB16_106
; %bb.100:
	s_movk_i32 s24, 0x32a
	v_mov_b32_e32 v1, 0
	v_cmp_gt_u32_e64 s[24:25], s24, v0
	ds_write_b32 v15, v1 offset:1296
	s_and_b64 exec, exec, s[24:25]
	s_cbranch_execz .LBB16_106
; %bb.101:
	s_movk_i32 s24, 0x288
	v_cmp_gt_u32_e64 s[24:25], s24, v0
	ds_write_b32 v15, v1 offset:1944
	s_and_b64 exec, exec, s[24:25]
	s_cbranch_execz .LBB16_106
; %bb.102:
	s_movk_i32 s24, 0x1e6
	v_mov_b32_e32 v1, 0
	v_cmp_gt_u32_e64 s[24:25], s24, v0
	ds_write_b32 v15, v1 offset:2592
	s_and_b64 exec, exec, s[24:25]
	s_cbranch_execz .LBB16_106
; %bb.103:
	s_movk_i32 s24, 0x144
	v_cmp_gt_u32_e64 s[24:25], s24, v0
	ds_write_b32 v15, v1 offset:3240
	s_and_b64 exec, exec, s[24:25]
	s_cbranch_execz .LBB16_106
; %bb.104:
	s_movk_i32 s24, 0xa2
	v_mov_b32_e32 v1, 0
	v_cmp_gt_u32_e64 s[24:25], s24, v0
	ds_write_b32 v15, v1 offset:3888
	s_and_b64 exec, exec, s[24:25]
; %bb.105:
	ds_write_b32 v15, v1 offset:4536
.LBB16_106:
	s_or_b64 exec, exec, s[26:27]
	v_bfe_u32 v1, v16, 24, 3
	s_movk_i32 s24, 0xa2
	v_lshrrev_b32_e32 v2, 26, v16
	v_mad_u32_u24 v1, v1, s24, v0
	v_and_b32_e32 v2, 2, v2
	v_lshl_or_b32 v18, v1, 2, v2
	ds_read_u16 v17, v18
	s_waitcnt lgkmcnt(0)
	v_add_u16_e32 v1, 1, v17
	ds_write_b16 v18, v1
	s_waitcnt lgkmcnt(0)
	s_barrier
	ds_read2_b64 v[5:8], v11 offset1:1
	ds_read2_b64 v[1:4], v11 offset0:2 offset1:3
	s_waitcnt lgkmcnt(1)
	v_add_u32_e32 v19, v6, v5
	v_add3_u32 v19, v19, v7, v8
	s_waitcnt lgkmcnt(0)
	v_add3_u32 v19, v19, v1, v2
	v_add3_u32 v4, v19, v3, v4
	s_nop 1
	v_mov_b32_dpp v19, v4 row_shr:1 row_mask:0xf bank_mask:0xf
	v_cndmask_b32_e64 v19, v19, 0, s[22:23]
	v_add_u32_e32 v4, v19, v4
	s_nop 1
	v_mov_b32_dpp v19, v4 row_shr:2 row_mask:0xf bank_mask:0xf
	v_cndmask_b32_e64 v19, 0, v19, s[20:21]
	v_add_u32_e32 v4, v4, v19
	;; [unrolled: 4-line block ×4, first 2 shown]
	s_nop 1
	v_mov_b32_dpp v19, v4 row_bcast:15 row_mask:0xf bank_mask:0xf
	v_cndmask_b32_e64 v19, v19, 0, s[14:15]
	v_add_u32_e32 v4, v4, v19
	s_nop 1
	v_mov_b32_dpp v19, v4 row_bcast:31 row_mask:0xf bank_mask:0xf
	v_cndmask_b32_e64 v19, 0, v19, s[10:11]
	v_add_u32_e32 v19, v4, v19
	s_and_saveexec_b64 s[24:25], s[12:13]
; %bb.107:
	ds_write_b32 v14, v19 offset:5184
; %bb.108:
	s_or_b64 exec, exec, s[24:25]
	s_waitcnt lgkmcnt(0)
	s_barrier
	s_and_saveexec_b64 s[24:25], s[4:5]
	s_cbranch_execz .LBB16_110
; %bb.109:
	ds_read_b32 v4, v12 offset:5184
	s_waitcnt lgkmcnt(0)
	s_nop 0
	v_mov_b32_dpp v20, v4 row_shr:1 row_mask:0xf bank_mask:0xf
	v_cndmask_b32_e64 v20, v20, 0, s[8:9]
	v_add_u32_e32 v4, v20, v4
	s_nop 1
	v_mov_b32_dpp v20, v4 row_shr:2 row_mask:0xf bank_mask:0xf
	v_cndmask_b32_e64 v20, 0, v20, s[6:7]
	v_add_u32_e32 v4, v4, v20
	ds_write_b32 v12, v4 offset:5184
.LBB16_110:
	s_or_b64 exec, exec, s[24:25]
	v_mov_b32_e32 v4, 0
	v_mov_b32_e32 v20, 0
	s_waitcnt lgkmcnt(0)
	s_barrier
	s_and_saveexec_b64 s[24:25], s[2:3]
; %bb.111:
	ds_read_b32 v20, v14 offset:5180
; %bb.112:
	s_or_b64 exec, exec, s[24:25]
	s_waitcnt lgkmcnt(0)
	v_add_u32_e32 v19, v20, v19
	ds_bpermute_b32 v19, v13, v19
	ds_read_b32 v21, v4 offset:5192
	s_waitcnt lgkmcnt(1)
	v_cndmask_b32_e64 v19, v19, v20, s[0:1]
	s_waitcnt lgkmcnt(0)
	v_lshl_add_u32 v19, v21, 16, v19
	v_add_u32_e32 v20, v19, v5
	v_add_u32_e32 v5, v20, v6
	;; [unrolled: 1-line block ×7, first 2 shown]
	ds_write2_b64 v11, v[19:20], v[5:6] offset1:1
	ds_write2_b64 v11, v[7:8], v[1:2] offset0:2 offset1:3
	s_waitcnt lgkmcnt(0)
	s_barrier
	ds_read_u16 v1, v18
	v_mov_b32_e32 v2, 2
	v_lshlrev_b32_sdwa v2, v2, v17 dst_sel:DWORD dst_unused:UNUSED_PAD src0_sel:DWORD src1_sel:WORD_0
	s_waitcnt lgkmcnt(0)
	s_barrier
	v_lshl_add_u32 v1, v1, 2, v2
	ds_write_b32 v1, v16
	s_waitcnt lgkmcnt(0)
	s_barrier
	ds_read_b32 v8, v12
	s_waitcnt lgkmcnt(0)
	s_barrier
	ds_write2_b32 v15, v4, v4 offset1:162
	s_and_saveexec_b64 s[24:25], vcc
	s_cbranch_execz .LBB16_119
; %bb.113:
	s_movk_i32 s26, 0x32a
	v_mov_b32_e32 v1, 0
	v_cmp_gt_u32_e32 vcc, s26, v0
	ds_write_b32 v15, v1 offset:1296
	s_and_b64 exec, exec, vcc
	s_cbranch_execz .LBB16_119
; %bb.114:
	s_movk_i32 s26, 0x288
	v_cmp_gt_u32_e32 vcc, s26, v0
	ds_write_b32 v15, v1 offset:1944
	s_and_b64 exec, exec, vcc
	s_cbranch_execz .LBB16_119
; %bb.115:
	s_movk_i32 s26, 0x1e6
	v_mov_b32_e32 v1, 0
	v_cmp_gt_u32_e32 vcc, s26, v0
	ds_write_b32 v15, v1 offset:2592
	s_and_b64 exec, exec, vcc
	s_cbranch_execz .LBB16_119
; %bb.116:
	s_movk_i32 s26, 0x144
	v_cmp_gt_u32_e32 vcc, s26, v0
	ds_write_b32 v15, v1 offset:3240
	s_and_b64 exec, exec, vcc
	s_cbranch_execz .LBB16_119
; %bb.117:
	s_movk_i32 s26, 0xa2
	v_mov_b32_e32 v1, 0
	v_cmp_gt_u32_e32 vcc, s26, v0
	ds_write_b32 v15, v1 offset:3888
	s_and_b64 exec, exec, vcc
; %bb.118:
	ds_write_b32 v15, v1 offset:4536
.LBB16_119:
	s_or_b64 exec, exec, s[24:25]
	v_bfe_u32 v1, v8, 28, 3
	s_movk_i32 s24, 0xa2
	v_mad_u32_u24 v0, v1, s24, v0
	v_alignbit_b32 v0, v0, v8, 30
	v_and_b32_e32 v16, 0x3ffe, v0
	ds_read_u16 v15, v16
	s_waitcnt lgkmcnt(0)
	v_add_u16_e32 v0, 1, v15
	ds_write_b16 v16, v0
	s_waitcnt lgkmcnt(0)
	s_barrier
	ds_read2_b64 v[4:7], v11 offset1:1
	ds_read2_b64 v[0:3], v11 offset0:2 offset1:3
	s_waitcnt lgkmcnt(1)
	v_add_u32_e32 v17, v5, v4
	v_add3_u32 v17, v17, v6, v7
	s_waitcnt lgkmcnt(0)
	v_add3_u32 v17, v17, v0, v1
	v_add3_u32 v3, v17, v2, v3
	s_nop 1
	v_mov_b32_dpp v17, v3 row_shr:1 row_mask:0xf bank_mask:0xf
	v_cndmask_b32_e64 v17, v17, 0, s[22:23]
	v_add_u32_e32 v3, v17, v3
	s_nop 1
	v_mov_b32_dpp v17, v3 row_shr:2 row_mask:0xf bank_mask:0xf
	v_cndmask_b32_e64 v17, 0, v17, s[20:21]
	v_add_u32_e32 v3, v3, v17
	;; [unrolled: 4-line block ×4, first 2 shown]
	s_nop 1
	v_mov_b32_dpp v17, v3 row_bcast:15 row_mask:0xf bank_mask:0xf
	v_cndmask_b32_e64 v17, v17, 0, s[14:15]
	v_add_u32_e32 v3, v3, v17
	s_nop 1
	v_mov_b32_dpp v17, v3 row_bcast:31 row_mask:0xf bank_mask:0xf
	v_cndmask_b32_e64 v17, 0, v17, s[10:11]
	v_add_u32_e32 v3, v3, v17
	s_and_saveexec_b64 s[10:11], s[12:13]
; %bb.120:
	ds_write_b32 v14, v3 offset:5184
; %bb.121:
	s_or_b64 exec, exec, s[10:11]
	s_waitcnt lgkmcnt(0)
	s_barrier
	s_and_saveexec_b64 s[10:11], s[4:5]
	s_cbranch_execz .LBB16_123
; %bb.122:
	ds_read_b32 v17, v12 offset:5184
	s_waitcnt lgkmcnt(0)
	s_nop 0
	v_mov_b32_dpp v18, v17 row_shr:1 row_mask:0xf bank_mask:0xf
	v_cndmask_b32_e64 v18, v18, 0, s[8:9]
	v_add_u32_e32 v17, v18, v17
	s_nop 1
	v_mov_b32_dpp v18, v17 row_shr:2 row_mask:0xf bank_mask:0xf
	v_cndmask_b32_e64 v18, 0, v18, s[6:7]
	v_add_u32_e32 v17, v17, v18
	ds_write_b32 v12, v17 offset:5184
.LBB16_123:
	s_or_b64 exec, exec, s[10:11]
	v_mov_b32_e32 v17, 0
	v_mov_b32_e32 v18, 0
	s_waitcnt lgkmcnt(0)
	s_barrier
	s_and_saveexec_b64 s[4:5], s[2:3]
; %bb.124:
	ds_read_b32 v18, v14 offset:5180
; %bb.125:
	s_or_b64 exec, exec, s[4:5]
	s_waitcnt lgkmcnt(0)
	v_add_u32_e32 v3, v18, v3
	ds_bpermute_b32 v3, v13, v3
	ds_read_b32 v13, v17 offset:5192
	s_waitcnt lgkmcnt(1)
	v_cndmask_b32_e64 v3, v3, v18, s[0:1]
	s_waitcnt lgkmcnt(0)
	v_lshl_add_u32 v3, v13, 16, v3
	v_add_u32_e32 v4, v3, v4
	v_add_u32_e32 v5, v4, v5
	;; [unrolled: 1-line block ×7, first 2 shown]
	ds_write2_b64 v11, v[3:4], v[5:6] offset1:1
	ds_write2_b64 v11, v[13:14], v[0:1] offset0:2 offset1:3
	s_waitcnt lgkmcnt(0)
	s_barrier
	ds_read_u16 v0, v16
	v_mov_b32_e32 v1, 2
	v_lshlrev_b32_sdwa v1, v1, v15 dst_sel:DWORD dst_unused:UNUSED_PAD src0_sel:DWORD src1_sel:WORD_0
	s_waitcnt lgkmcnt(0)
	s_barrier
	v_lshl_add_u32 v0, v0, 2, v1
	ds_write_b32 v0, v8
	s_waitcnt lgkmcnt(0)
	s_barrier
	ds_read_b32 v0, v12
	s_waitcnt lgkmcnt(0)
	global_store_dword v[9:10], v0, off
	s_endpgm
	.section	.rodata,"a",@progbits
	.p2align	6, 0x0
	.amdhsa_kernel _Z15sort_key_kernelILj162ELj1ELb1ELb0EjEvPT3_jj
		.amdhsa_group_segment_fixed_size 5200
		.amdhsa_private_segment_fixed_size 0
		.amdhsa_kernarg_size 16
		.amdhsa_user_sgpr_count 6
		.amdhsa_user_sgpr_private_segment_buffer 1
		.amdhsa_user_sgpr_dispatch_ptr 0
		.amdhsa_user_sgpr_queue_ptr 0
		.amdhsa_user_sgpr_kernarg_segment_ptr 1
		.amdhsa_user_sgpr_dispatch_id 0
		.amdhsa_user_sgpr_flat_scratch_init 0
		.amdhsa_user_sgpr_private_segment_size 0
		.amdhsa_uses_dynamic_stack 0
		.amdhsa_system_sgpr_private_segment_wavefront_offset 0
		.amdhsa_system_sgpr_workgroup_id_x 1
		.amdhsa_system_sgpr_workgroup_id_y 0
		.amdhsa_system_sgpr_workgroup_id_z 0
		.amdhsa_system_sgpr_workgroup_info 0
		.amdhsa_system_vgpr_workitem_id 0
		.amdhsa_next_free_vgpr 25
		.amdhsa_next_free_sgpr 61
		.amdhsa_reserve_vcc 1
		.amdhsa_reserve_flat_scratch 0
		.amdhsa_float_round_mode_32 0
		.amdhsa_float_round_mode_16_64 0
		.amdhsa_float_denorm_mode_32 3
		.amdhsa_float_denorm_mode_16_64 3
		.amdhsa_dx10_clamp 1
		.amdhsa_ieee_mode 1
		.amdhsa_fp16_overflow 0
		.amdhsa_exception_fp_ieee_invalid_op 0
		.amdhsa_exception_fp_denorm_src 0
		.amdhsa_exception_fp_ieee_div_zero 0
		.amdhsa_exception_fp_ieee_overflow 0
		.amdhsa_exception_fp_ieee_underflow 0
		.amdhsa_exception_fp_ieee_inexact 0
		.amdhsa_exception_int_div_zero 0
	.end_amdhsa_kernel
	.section	.text._Z15sort_key_kernelILj162ELj1ELb1ELb0EjEvPT3_jj,"axG",@progbits,_Z15sort_key_kernelILj162ELj1ELb1ELb0EjEvPT3_jj,comdat
.Lfunc_end16:
	.size	_Z15sort_key_kernelILj162ELj1ELb1ELb0EjEvPT3_jj, .Lfunc_end16-_Z15sort_key_kernelILj162ELj1ELb1ELb0EjEvPT3_jj
                                        ; -- End function
	.set _Z15sort_key_kernelILj162ELj1ELb1ELb0EjEvPT3_jj.num_vgpr, 25
	.set _Z15sort_key_kernelILj162ELj1ELb1ELb0EjEvPT3_jj.num_agpr, 0
	.set _Z15sort_key_kernelILj162ELj1ELb1ELb0EjEvPT3_jj.numbered_sgpr, 42
	.set _Z15sort_key_kernelILj162ELj1ELb1ELb0EjEvPT3_jj.num_named_barrier, 0
	.set _Z15sort_key_kernelILj162ELj1ELb1ELb0EjEvPT3_jj.private_seg_size, 0
	.set _Z15sort_key_kernelILj162ELj1ELb1ELb0EjEvPT3_jj.uses_vcc, 1
	.set _Z15sort_key_kernelILj162ELj1ELb1ELb0EjEvPT3_jj.uses_flat_scratch, 0
	.set _Z15sort_key_kernelILj162ELj1ELb1ELb0EjEvPT3_jj.has_dyn_sized_stack, 0
	.set _Z15sort_key_kernelILj162ELj1ELb1ELb0EjEvPT3_jj.has_recursion, 0
	.set _Z15sort_key_kernelILj162ELj1ELb1ELb0EjEvPT3_jj.has_indirect_call, 0
	.section	.AMDGPU.csdata,"",@progbits
; Kernel info:
; codeLenInByte = 7096
; TotalNumSgprs: 46
; NumVgprs: 25
; ScratchSize: 0
; MemoryBound: 0
; FloatMode: 240
; IeeeMode: 1
; LDSByteSize: 5200 bytes/workgroup (compile time only)
; SGPRBlocks: 8
; VGPRBlocks: 6
; NumSGPRsForWavesPerEU: 65
; NumVGPRsForWavesPerEU: 25
; Occupancy: 9
; WaveLimiterHint : 0
; COMPUTE_PGM_RSRC2:SCRATCH_EN: 0
; COMPUTE_PGM_RSRC2:USER_SGPR: 6
; COMPUTE_PGM_RSRC2:TRAP_HANDLER: 0
; COMPUTE_PGM_RSRC2:TGID_X_EN: 1
; COMPUTE_PGM_RSRC2:TGID_Y_EN: 0
; COMPUTE_PGM_RSRC2:TGID_Z_EN: 0
; COMPUTE_PGM_RSRC2:TIDIG_COMP_CNT: 0
	.section	.text._Z15sort_key_kernelILj510ELj1ELb0ELb1ExEvPT3_jj,"axG",@progbits,_Z15sort_key_kernelILj510ELj1ELb0ELb1ExEvPT3_jj,comdat
	.protected	_Z15sort_key_kernelILj510ELj1ELb0ELb1ExEvPT3_jj ; -- Begin function _Z15sort_key_kernelILj510ELj1ELb0ELb1ExEvPT3_jj
	.globl	_Z15sort_key_kernelILj510ELj1ELb0ELb1ExEvPT3_jj
	.p2align	8
	.type	_Z15sort_key_kernelILj510ELj1ELb0ELb1ExEvPT3_jj,@function
_Z15sort_key_kernelILj510ELj1ELb0ELb1ExEvPT3_jj: ; @_Z15sort_key_kernelILj510ELj1ELb0ELb1ExEvPT3_jj
; %bb.0:
	s_load_dwordx4 s[28:31], s[4:5], 0x0
	s_mul_i32 s0, s6, 0x1fe
	s_mov_b32 s1, 0
	s_lshl_b64 s[0:1], s[0:1], 3
	v_lshlrev_b32_e32 v3, 3, v0
	s_waitcnt lgkmcnt(0)
	s_add_u32 s28, s28, s0
	s_addc_u32 s29, s29, s1
	global_load_dwordx2 v[1:2], v3, s[28:29]
	v_mbcnt_lo_u32_b32 v4, -1, 0
	v_mbcnt_hi_u32_b32 v4, -1, v4
	v_subrev_co_u32_e64 v9, s[6:7], 1, v4
	v_and_b32_e32 v10, 64, v4
	v_lshrrev_b32_e32 v6, 4, v0
	v_cmp_lt_i32_e32 vcc, v9, v10
	v_and_b32_e32 v7, 15, v4
	v_and_b32_e32 v8, 16, v4
	v_cmp_lt_u32_e64 s[4:5], 31, v4
	v_and_b32_e32 v18, 28, v6
	v_and_b32_e32 v6, 7, v4
	v_cndmask_b32_e32 v4, v9, v4, vcc
	s_cmp_eq_u32 s30, 0
	v_and_b32_e32 v5, 0x1c0, v0
	v_lshlrev_b32_e32 v21, 2, v4
	v_mov_b32_e32 v4, s29
	v_add_co_u32_e32 v9, vcc, s28, v3
	s_cselect_b64 s[28:29], -1, 0
	s_cmp_eq_u32 s31, 64
	s_movk_i32 s8, 0xffe4
	v_lshlrev_b32_e32 v17, 5, v0
	v_min_u32_e32 v5, 0x1be, v5
	s_cselect_b64 s[34:35], -1, 0
	v_lshlrev_b32_e32 v16, 2, v0
	v_mad_i32_i24 v19, v0, s8, v17
	v_add_u32_e32 v5, 63, v5
	v_addc_co_u32_e32 v10, vcc, 0, v4, vcc
	s_and_b64 s[28:29], s[28:29], s[34:35]
	s_movk_i32 s33, 0x1fe
	v_mov_b32_e32 v15, 0
	s_mov_b64 s[26:27], -1
	v_cmp_gt_u32_e64 s[0:1], 8, v0
	v_cmp_lt_u32_e64 s[2:3], 63, v0
	v_cmp_eq_u32_e64 s[8:9], 0, v7
	v_cmp_lt_u32_e64 s[10:11], 1, v7
	v_cmp_lt_u32_e64 s[12:13], 3, v7
	;; [unrolled: 1-line block ×3, first 2 shown]
	v_cmp_eq_u32_e64 s[16:17], 0, v8
	v_cmp_eq_u32_e64 s[18:19], 0, v6
	v_cmp_lt_u32_e64 s[20:21], 1, v6
	v_cmp_lt_u32_e64 s[22:23], 3, v6
	v_add_u32_e32 v20, v19, v16
	v_cmp_eq_u32_e64 s[24:25], v0, v5
	s_and_b64 vcc, exec, s[28:29]
	s_waitcnt vmcnt(0)
	v_xor_b32_e32 v12, 0x7fffffff, v2
	v_not_b32_e32 v11, v1
	s_cbranch_vccnz .LBB17_15
; %bb.1:
	s_movk_i32 s26, 0x3fc
	v_mov_b32_e32 v1, v11
	v_cmp_gt_u32_e64 s[26:27], s26, v0
	v_cmp_gt_u32_e64 s[28:29], s33, v0
	s_sub_i32 s36, s31, s30
	v_mov_b32_e32 v22, 3
	v_mov_b32_e32 v2, v12
	s_branch .LBB17_3
.LBB17_2:                               ;   in Loop: Header=BB17_3 Depth=1
	s_andn2_b64 vcc, exec, s[34:35]
	s_cbranch_vccz .LBB17_14
.LBB17_3:                               ; =>This Inner Loop Header: Depth=1
	v_mov_b32_e32 v14, v2
	v_mov_b32_e32 v13, v1
	ds_write_b32 v16, v15
	ds_write_b32 v16, v15 offset:2040
	ds_write_b32 v16, v15 offset:4080
	;; [unrolled: 1-line block ×5, first 2 shown]
	s_and_saveexec_b64 s[34:35], s[26:27]
	s_cbranch_execz .LBB17_6
; %bb.4:                                ;   in Loop: Header=BB17_3 Depth=1
	ds_write_b32 v16, v15 offset:12240
	s_and_b64 exec, exec, s[28:29]
; %bb.5:                                ;   in Loop: Header=BB17_3 Depth=1
	ds_write_b32 v16, v15 offset:14280
.LBB17_6:                               ;   in Loop: Header=BB17_3 Depth=1
	s_or_b64 exec, exec, s[34:35]
	v_lshrrev_b64 v[1:2], s30, v[13:14]
	s_min_u32 s34, s36, 4
	v_bfe_u32 v1, v1, 0, s34
	v_and_b32_e32 v2, 7, v1
	v_lshrrev_b32_e32 v1, 2, v1
	v_mad_u32_u24 v2, v2, s33, v0
	v_and_b32_e32 v1, 30, v1
	v_lshl_add_u32 v24, v2, 2, v1
	ds_read_u16 v23, v24
	s_waitcnt lgkmcnt(0)
	v_add_u16_e32 v1, 1, v23
	ds_write_b16 v24, v1
	s_waitcnt lgkmcnt(0)
	s_barrier
	ds_read2_b64 v[5:8], v17 offset1:1
	ds_read2_b64 v[1:4], v17 offset0:2 offset1:3
	s_waitcnt lgkmcnt(1)
	v_add_u32_e32 v25, v6, v5
	v_add3_u32 v25, v25, v7, v8
	s_waitcnt lgkmcnt(0)
	v_add3_u32 v25, v25, v1, v2
	v_add3_u32 v4, v25, v3, v4
	s_nop 1
	v_mov_b32_dpp v25, v4 row_shr:1 row_mask:0xf bank_mask:0xf
	v_cndmask_b32_e64 v25, v25, 0, s[8:9]
	v_add_u32_e32 v4, v25, v4
	s_nop 1
	v_mov_b32_dpp v25, v4 row_shr:2 row_mask:0xf bank_mask:0xf
	v_cndmask_b32_e64 v25, 0, v25, s[10:11]
	v_add_u32_e32 v4, v4, v25
	;; [unrolled: 4-line block ×4, first 2 shown]
	s_nop 1
	v_mov_b32_dpp v25, v4 row_bcast:15 row_mask:0xf bank_mask:0xf
	v_cndmask_b32_e64 v25, v25, 0, s[16:17]
	v_add_u32_e32 v4, v4, v25
	s_nop 1
	v_mov_b32_dpp v25, v4 row_bcast:31 row_mask:0xf bank_mask:0xf
	v_cndmask_b32_e64 v25, 0, v25, s[4:5]
	v_add_u32_e32 v4, v4, v25
	s_and_saveexec_b64 s[34:35], s[24:25]
; %bb.7:                                ;   in Loop: Header=BB17_3 Depth=1
	ds_write_b32 v18, v4 offset:16320
; %bb.8:                                ;   in Loop: Header=BB17_3 Depth=1
	s_or_b64 exec, exec, s[34:35]
	s_waitcnt lgkmcnt(0)
	s_barrier
	s_and_saveexec_b64 s[34:35], s[0:1]
	s_cbranch_execz .LBB17_10
; %bb.9:                                ;   in Loop: Header=BB17_3 Depth=1
	ds_read_b32 v25, v19 offset:16320
	s_waitcnt lgkmcnt(0)
	s_nop 0
	v_mov_b32_dpp v26, v25 row_shr:1 row_mask:0xf bank_mask:0xf
	v_cndmask_b32_e64 v26, v26, 0, s[18:19]
	v_add_u32_e32 v25, v26, v25
	s_nop 1
	v_mov_b32_dpp v26, v25 row_shr:2 row_mask:0xf bank_mask:0xf
	v_cndmask_b32_e64 v26, 0, v26, s[20:21]
	v_add_u32_e32 v25, v25, v26
	;; [unrolled: 4-line block ×3, first 2 shown]
	ds_write_b32 v19, v25 offset:16320
.LBB17_10:                              ;   in Loop: Header=BB17_3 Depth=1
	s_or_b64 exec, exec, s[34:35]
	v_mov_b32_e32 v25, 0
	s_waitcnt lgkmcnt(0)
	s_barrier
	s_and_saveexec_b64 s[34:35], s[2:3]
; %bb.11:                               ;   in Loop: Header=BB17_3 Depth=1
	ds_read_b32 v25, v18 offset:16316
; %bb.12:                               ;   in Loop: Header=BB17_3 Depth=1
	s_or_b64 exec, exec, s[34:35]
	s_waitcnt lgkmcnt(0)
	v_add_u32_e32 v4, v25, v4
	ds_bpermute_b32 v4, v21, v4
	ds_read_b32 v26, v15 offset:16348
	s_add_i32 s30, s30, 4
	s_cmp_ge_u32 s30, s31
	s_mov_b64 s[34:35], -1
	s_waitcnt lgkmcnt(1)
	v_cndmask_b32_e64 v4, v4, v25, s[6:7]
	s_waitcnt lgkmcnt(0)
	v_lshl_add_u32 v4, v26, 16, v4
	v_add_u32_e32 v5, v4, v5
	v_add_u32_e32 v6, v5, v6
	;; [unrolled: 1-line block ×7, first 2 shown]
	ds_write2_b64 v17, v[4:5], v[6:7] offset1:1
	ds_write2_b64 v17, v[25:26], v[1:2] offset0:2 offset1:3
	s_waitcnt lgkmcnt(0)
	s_barrier
	ds_read_u16 v1, v24
	v_lshlrev_b32_sdwa v2, v22, v23 dst_sel:DWORD dst_unused:UNUSED_PAD src0_sel:DWORD src1_sel:WORD_0
	s_waitcnt lgkmcnt(0)
	v_lshl_add_u32 v3, v1, 3, v2
                                        ; implicit-def: $vgpr1_vgpr2
	s_cbranch_scc1 .LBB17_2
; %bb.13:                               ;   in Loop: Header=BB17_3 Depth=1
	s_barrier
	ds_write_b64 v3, v[13:14]
	s_waitcnt lgkmcnt(0)
	s_barrier
	ds_read_b64 v[1:2], v20
	s_add_i32 s36, s36, -4
	s_mov_b64 s[34:35], 0
	s_waitcnt lgkmcnt(0)
	s_barrier
	s_branch .LBB17_2
.LBB17_14:
	s_mov_b64 s[26:27], 0
	s_barrier
	ds_write_b64 v3, v[13:14]
	s_waitcnt lgkmcnt(0)
	s_barrier
.LBB17_15:
	s_and_b64 vcc, exec, s[26:27]
	s_cbranch_vccz .LBB17_30
; %bb.16:
	v_sub_u32_e32 v1, 0, v16
	s_movk_i32 s26, 0x3fc
	s_movk_i32 s33, 0x1fe
	v_mov_b32_e32 v13, 0
	v_cmp_gt_u32_e64 s[26:27], s26, v0
	v_cmp_gt_u32_e64 s[28:29], s33, v0
	v_mov_b32_e32 v14, 0
	v_add_u32_e32 v22, v20, v1
	v_mov_b32_e32 v23, 0
	s_branch .LBB17_18
.LBB17_17:                              ;   in Loop: Header=BB17_18 Depth=1
	s_andn2_b64 vcc, exec, s[30:31]
	s_cbranch_vccz .LBB17_29
.LBB17_18:                              ; =>This Inner Loop Header: Depth=1
	v_mov_b32_e32 v16, v12
	v_mov_b32_e32 v15, v11
	ds_write_b32 v22, v23
	ds_write_b32 v22, v23 offset:2040
	ds_write_b32 v22, v23 offset:4080
	;; [unrolled: 1-line block ×5, first 2 shown]
	s_and_saveexec_b64 s[30:31], s[26:27]
	s_cbranch_execz .LBB17_21
; %bb.19:                               ;   in Loop: Header=BB17_18 Depth=1
	ds_write_b32 v22, v23 offset:12240
	s_and_b64 exec, exec, s[28:29]
; %bb.20:                               ;   in Loop: Header=BB17_18 Depth=1
	ds_write_b32 v22, v23 offset:14280
.LBB17_21:                              ;   in Loop: Header=BB17_18 Depth=1
	s_or_b64 exec, exec, s[30:31]
	v_lshrrev_b64 v[1:2], v13, v[15:16]
	v_and_b32_e32 v2, 7, v1
	v_lshrrev_b32_e32 v1, 2, v1
	v_mad_u32_u24 v2, v2, s33, v0
	v_and_b32_e32 v1, 2, v1
	v_lshl_or_b32 v12, v2, 2, v1
	ds_read_u16 v11, v12
	s_waitcnt lgkmcnt(0)
	v_add_u16_e32 v1, 1, v11
	ds_write_b16 v12, v1
	s_waitcnt lgkmcnt(0)
	s_barrier
	ds_read2_b64 v[5:8], v17 offset1:1
	ds_read2_b64 v[1:4], v17 offset0:2 offset1:3
	s_waitcnt lgkmcnt(1)
	v_add_u32_e32 v24, v6, v5
	v_add3_u32 v24, v24, v7, v8
	s_waitcnt lgkmcnt(0)
	v_add3_u32 v24, v24, v1, v2
	v_add3_u32 v4, v24, v3, v4
	s_nop 1
	v_mov_b32_dpp v24, v4 row_shr:1 row_mask:0xf bank_mask:0xf
	v_cndmask_b32_e64 v24, v24, 0, s[8:9]
	v_add_u32_e32 v4, v24, v4
	s_nop 1
	v_mov_b32_dpp v24, v4 row_shr:2 row_mask:0xf bank_mask:0xf
	v_cndmask_b32_e64 v24, 0, v24, s[10:11]
	v_add_u32_e32 v4, v4, v24
	;; [unrolled: 4-line block ×4, first 2 shown]
	s_nop 1
	v_mov_b32_dpp v24, v4 row_bcast:15 row_mask:0xf bank_mask:0xf
	v_cndmask_b32_e64 v24, v24, 0, s[16:17]
	v_add_u32_e32 v4, v4, v24
	s_nop 1
	v_mov_b32_dpp v24, v4 row_bcast:31 row_mask:0xf bank_mask:0xf
	v_cndmask_b32_e64 v24, 0, v24, s[4:5]
	v_add_u32_e32 v4, v4, v24
	s_and_saveexec_b64 s[30:31], s[24:25]
; %bb.22:                               ;   in Loop: Header=BB17_18 Depth=1
	ds_write_b32 v18, v4 offset:16320
; %bb.23:                               ;   in Loop: Header=BB17_18 Depth=1
	s_or_b64 exec, exec, s[30:31]
	s_waitcnt lgkmcnt(0)
	s_barrier
	s_and_saveexec_b64 s[30:31], s[0:1]
	s_cbranch_execz .LBB17_25
; %bb.24:                               ;   in Loop: Header=BB17_18 Depth=1
	ds_read_b32 v24, v19 offset:16320
	s_waitcnt lgkmcnt(0)
	s_nop 0
	v_mov_b32_dpp v25, v24 row_shr:1 row_mask:0xf bank_mask:0xf
	v_cndmask_b32_e64 v25, v25, 0, s[18:19]
	v_add_u32_e32 v24, v25, v24
	s_nop 1
	v_mov_b32_dpp v25, v24 row_shr:2 row_mask:0xf bank_mask:0xf
	v_cndmask_b32_e64 v25, 0, v25, s[20:21]
	v_add_u32_e32 v24, v24, v25
	;; [unrolled: 4-line block ×3, first 2 shown]
	ds_write_b32 v19, v24 offset:16320
.LBB17_25:                              ;   in Loop: Header=BB17_18 Depth=1
	s_or_b64 exec, exec, s[30:31]
	v_mov_b32_e32 v24, 0
	s_waitcnt lgkmcnt(0)
	s_barrier
	s_and_saveexec_b64 s[30:31], s[2:3]
; %bb.26:                               ;   in Loop: Header=BB17_18 Depth=1
	ds_read_b32 v24, v18 offset:16316
; %bb.27:                               ;   in Loop: Header=BB17_18 Depth=1
	s_or_b64 exec, exec, s[30:31]
	s_waitcnt lgkmcnt(0)
	v_add_u32_e32 v4, v24, v4
	ds_bpermute_b32 v4, v21, v4
	ds_read_b32 v25, v23 offset:16348
	v_cmp_lt_u32_e32 vcc, 59, v13
	s_and_b64 vcc, exec, vcc
	s_mov_b64 s[30:31], -1
	s_waitcnt lgkmcnt(1)
	v_cndmask_b32_e64 v4, v4, v24, s[6:7]
	s_waitcnt lgkmcnt(0)
	v_lshl_add_u32 v4, v25, 16, v4
	v_add_u32_e32 v5, v4, v5
	v_add_u32_e32 v6, v5, v6
	;; [unrolled: 1-line block ×7, first 2 shown]
	ds_write2_b64 v17, v[4:5], v[6:7] offset1:1
	ds_write2_b64 v17, v[24:25], v[1:2] offset0:2 offset1:3
	s_waitcnt lgkmcnt(0)
	s_barrier
	ds_read_u16 v1, v12
	s_waitcnt lgkmcnt(0)
	v_add_u32_sdwa v1, v1, v11 dst_sel:DWORD dst_unused:UNUSED_PAD src0_sel:DWORD src1_sel:WORD_0
                                        ; implicit-def: $vgpr11_vgpr12
	s_cbranch_vccnz .LBB17_17
; %bb.28:                               ;   in Loop: Header=BB17_18 Depth=1
	v_lshlrev_b32_e32 v2, 3, v1
	s_barrier
	ds_write_b64 v2, v[15:16]
	s_waitcnt lgkmcnt(0)
	s_barrier
	ds_read_b64 v[11:12], v20
	v_add_co_u32_e32 v13, vcc, 4, v13
	v_addc_co_u32_e32 v14, vcc, 0, v14, vcc
	s_mov_b64 s[30:31], 0
	s_waitcnt lgkmcnt(0)
	s_barrier
	s_branch .LBB17_17
.LBB17_29:
	v_lshlrev_b32_e32 v0, 3, v1
	s_barrier
	ds_write_b64 v0, v[15:16]
	s_waitcnt lgkmcnt(0)
	s_barrier
.LBB17_30:
	ds_read_b64 v[0:1], v20
	s_waitcnt lgkmcnt(0)
	v_xor_b32_e32 v1, 0x7fffffff, v1
	v_not_b32_e32 v0, v0
	global_store_dwordx2 v[9:10], v[0:1], off
	s_endpgm
	.section	.rodata,"a",@progbits
	.p2align	6, 0x0
	.amdhsa_kernel _Z15sort_key_kernelILj510ELj1ELb0ELb1ExEvPT3_jj
		.amdhsa_group_segment_fixed_size 16352
		.amdhsa_private_segment_fixed_size 0
		.amdhsa_kernarg_size 16
		.amdhsa_user_sgpr_count 6
		.amdhsa_user_sgpr_private_segment_buffer 1
		.amdhsa_user_sgpr_dispatch_ptr 0
		.amdhsa_user_sgpr_queue_ptr 0
		.amdhsa_user_sgpr_kernarg_segment_ptr 1
		.amdhsa_user_sgpr_dispatch_id 0
		.amdhsa_user_sgpr_flat_scratch_init 0
		.amdhsa_user_sgpr_private_segment_size 0
		.amdhsa_uses_dynamic_stack 0
		.amdhsa_system_sgpr_private_segment_wavefront_offset 0
		.amdhsa_system_sgpr_workgroup_id_x 1
		.amdhsa_system_sgpr_workgroup_id_y 0
		.amdhsa_system_sgpr_workgroup_id_z 0
		.amdhsa_system_sgpr_workgroup_info 0
		.amdhsa_system_vgpr_workitem_id 0
		.amdhsa_next_free_vgpr 29
		.amdhsa_next_free_sgpr 61
		.amdhsa_reserve_vcc 1
		.amdhsa_reserve_flat_scratch 0
		.amdhsa_float_round_mode_32 0
		.amdhsa_float_round_mode_16_64 0
		.amdhsa_float_denorm_mode_32 3
		.amdhsa_float_denorm_mode_16_64 3
		.amdhsa_dx10_clamp 1
		.amdhsa_ieee_mode 1
		.amdhsa_fp16_overflow 0
		.amdhsa_exception_fp_ieee_invalid_op 0
		.amdhsa_exception_fp_denorm_src 0
		.amdhsa_exception_fp_ieee_div_zero 0
		.amdhsa_exception_fp_ieee_overflow 0
		.amdhsa_exception_fp_ieee_underflow 0
		.amdhsa_exception_fp_ieee_inexact 0
		.amdhsa_exception_int_div_zero 0
	.end_amdhsa_kernel
	.section	.text._Z15sort_key_kernelILj510ELj1ELb0ELb1ExEvPT3_jj,"axG",@progbits,_Z15sort_key_kernelILj510ELj1ELb0ELb1ExEvPT3_jj,comdat
.Lfunc_end17:
	.size	_Z15sort_key_kernelILj510ELj1ELb0ELb1ExEvPT3_jj, .Lfunc_end17-_Z15sort_key_kernelILj510ELj1ELb0ELb1ExEvPT3_jj
                                        ; -- End function
	.set _Z15sort_key_kernelILj510ELj1ELb0ELb1ExEvPT3_jj.num_vgpr, 27
	.set _Z15sort_key_kernelILj510ELj1ELb0ELb1ExEvPT3_jj.num_agpr, 0
	.set _Z15sort_key_kernelILj510ELj1ELb0ELb1ExEvPT3_jj.numbered_sgpr, 37
	.set _Z15sort_key_kernelILj510ELj1ELb0ELb1ExEvPT3_jj.num_named_barrier, 0
	.set _Z15sort_key_kernelILj510ELj1ELb0ELb1ExEvPT3_jj.private_seg_size, 0
	.set _Z15sort_key_kernelILj510ELj1ELb0ELb1ExEvPT3_jj.uses_vcc, 1
	.set _Z15sort_key_kernelILj510ELj1ELb0ELb1ExEvPT3_jj.uses_flat_scratch, 0
	.set _Z15sort_key_kernelILj510ELj1ELb0ELb1ExEvPT3_jj.has_dyn_sized_stack, 0
	.set _Z15sort_key_kernelILj510ELj1ELb0ELb1ExEvPT3_jj.has_recursion, 0
	.set _Z15sort_key_kernelILj510ELj1ELb0ELb1ExEvPT3_jj.has_indirect_call, 0
	.section	.AMDGPU.csdata,"",@progbits
; Kernel info:
; codeLenInByte = 1924
; TotalNumSgprs: 41
; NumVgprs: 27
; ScratchSize: 0
; MemoryBound: 0
; FloatMode: 240
; IeeeMode: 1
; LDSByteSize: 16352 bytes/workgroup (compile time only)
; SGPRBlocks: 8
; VGPRBlocks: 7
; NumSGPRsForWavesPerEU: 65
; NumVGPRsForWavesPerEU: 29
; Occupancy: 8
; WaveLimiterHint : 0
; COMPUTE_PGM_RSRC2:SCRATCH_EN: 0
; COMPUTE_PGM_RSRC2:USER_SGPR: 6
; COMPUTE_PGM_RSRC2:TRAP_HANDLER: 0
; COMPUTE_PGM_RSRC2:TGID_X_EN: 1
; COMPUTE_PGM_RSRC2:TGID_Y_EN: 0
; COMPUTE_PGM_RSRC2:TGID_Z_EN: 0
; COMPUTE_PGM_RSRC2:TIDIG_COMP_CNT: 0
	.section	.text._Z15sort_key_kernelILj37ELj1ELb0ELb0E6__halfEvPT3_jj,"axG",@progbits,_Z15sort_key_kernelILj37ELj1ELb0ELb0E6__halfEvPT3_jj,comdat
	.protected	_Z15sort_key_kernelILj37ELj1ELb0ELb0E6__halfEvPT3_jj ; -- Begin function _Z15sort_key_kernelILj37ELj1ELb0ELb0E6__halfEvPT3_jj
	.globl	_Z15sort_key_kernelILj37ELj1ELb0ELb0E6__halfEvPT3_jj
	.p2align	8
	.type	_Z15sort_key_kernelILj37ELj1ELb0ELb0E6__halfEvPT3_jj,@function
_Z15sort_key_kernelILj37ELj1ELb0ELb0E6__halfEvPT3_jj: ; @_Z15sort_key_kernelILj37ELj1ELb0ELb0E6__halfEvPT3_jj
; %bb.0:
	s_load_dwordx4 s[36:39], s[4:5], 0x0
	s_mul_i32 s0, s6, 37
	s_mov_b32 s1, 0
	s_lshl_b64 s[0:1], s[0:1], 1
	v_lshlrev_b32_e32 v16, 1, v0
	s_waitcnt lgkmcnt(0)
	s_add_u32 s18, s36, s0
	s_addc_u32 s19, s37, s1
	global_load_ushort v1, v16, s[18:19]
	v_mbcnt_lo_u32_b32 v2, -1, 0
	s_movk_i32 s0, 0x128
	v_mbcnt_hi_u32_b32 v2, -1, v2
	v_cmp_gt_u32_e64 s[16:17], s0, v0
	v_subrev_co_u32_e64 v5, s[0:1], 1, v2
	v_and_b32_e32 v6, 64, v2
	v_cmp_lt_i32_e32 vcc, v5, v6
	v_and_b32_e32 v3, 15, v2
	v_and_b32_e32 v4, 16, v2
	v_cmp_lt_u32_e64 s[4:5], 31, v2
	v_cndmask_b32_e32 v2, v5, v2, vcc
	s_cmp_eq_u32 s38, 0
	v_lshlrev_b32_e32 v13, 2, v2
	v_mov_b32_e32 v2, s19
	v_add_co_u32_e32 v9, vcc, s18, v16
	s_cselect_b64 s[18:19], -1, 0
	s_cmp_eq_u32 s39, 16
	s_cselect_b64 s[22:23], -1, 0
	v_addc_co_u32_e32 v10, vcc, 0, v2, vcc
	s_and_b64 s[18:19], s[18:19], s[22:23]
	v_mov_b32_e32 v18, 0xffff8000
	s_and_b64 vcc, exec, s[18:19]
	s_movk_i32 s6, 0xffe2
	v_lshlrev_b32_e32 v12, 5, v0
	v_mov_b32_e32 v17, 0
	s_mov_b64 s[20:21], -1
	v_cmp_eq_u32_e64 s[2:3], 36, v0
	v_lshlrev_b32_e32 v14, 2, v0
	v_mad_i32_i24 v11, v0, s6, v12
	v_cmp_eq_u32_e64 s[14:15], 0, v3
	v_cmp_lt_u32_e64 s[12:13], 1, v3
	v_cmp_lt_u32_e64 s[10:11], 3, v3
	;; [unrolled: 1-line block ×3, first 2 shown]
	v_cmp_eq_u32_e64 s[6:7], 0, v4
	s_waitcnt vmcnt(0)
	v_cmp_lt_i16_e64 s[18:19], -1, v1
	v_cndmask_b32_e64 v2, -1, v18, s[18:19]
	v_xor_b32_e32 v15, v2, v1
	s_cbranch_vccnz .LBB18_17
; %bb.1:
	s_movk_i32 s18, 0x103
	s_movk_i32 s20, 0xde
	;; [unrolled: 1-line block ×6, first 2 shown]
	v_cmp_gt_u32_e64 s[18:19], s18, v0
	v_cmp_gt_u32_e64 s[20:21], s20, v0
	v_cmp_gt_u32_e64 s[22:23], s22, v0
	v_cmp_gt_u32_e64 s[24:25], s24, v0
	v_cmp_gt_u32_e64 s[26:27], s26, v0
	v_cmp_gt_u32_e64 s[28:29], s28, v0
	v_cmp_gt_u32_e64 s[30:31], 37, v0
	s_sub_i32 s33, s39, s38
	s_movk_i32 s36, 0x7fff
	v_mov_b32_e32 v2, v15
	s_branch .LBB18_3
.LBB18_2:                               ;   in Loop: Header=BB18_3 Depth=1
	s_andn2_b64 vcc, exec, s[34:35]
	s_cbranch_vccz .LBB18_16
.LBB18_3:                               ; =>This Inner Loop Header: Depth=1
	v_mov_b32_e32 v19, v2
	s_and_saveexec_b64 s[34:35], s[16:17]
	s_cbranch_execz .LBB18_12
; %bb.4:                                ;   in Loop: Header=BB18_3 Depth=1
	ds_write_b32 v14, v17
	s_and_b64 exec, exec, s[18:19]
	s_cbranch_execz .LBB18_12
; %bb.5:                                ;   in Loop: Header=BB18_3 Depth=1
	ds_write_b32 v14, v17 offset:148
	s_and_b64 exec, exec, s[20:21]
	s_cbranch_execz .LBB18_12
; %bb.6:                                ;   in Loop: Header=BB18_3 Depth=1
	ds_write_b32 v14, v17 offset:296
	s_and_b64 exec, exec, s[22:23]
	s_cbranch_execz .LBB18_12
; %bb.7:                                ;   in Loop: Header=BB18_3 Depth=1
	ds_write_b32 v14, v17 offset:444
	s_and_b64 exec, exec, s[24:25]
	s_cbranch_execz .LBB18_12
; %bb.8:                                ;   in Loop: Header=BB18_3 Depth=1
	ds_write_b32 v14, v17 offset:592
	s_and_b64 exec, exec, s[26:27]
	s_cbranch_execz .LBB18_12
; %bb.9:                                ;   in Loop: Header=BB18_3 Depth=1
	ds_write_b32 v14, v17 offset:740
	s_and_b64 exec, exec, s[28:29]
	s_cbranch_execz .LBB18_12
; %bb.10:                               ;   in Loop: Header=BB18_3 Depth=1
	ds_write_b32 v14, v17 offset:888
	s_and_b64 exec, exec, s[30:31]
; %bb.11:                               ;   in Loop: Header=BB18_3 Depth=1
	ds_write_b32 v14, v17 offset:1036
.LBB18_12:                              ;   in Loop: Header=BB18_3 Depth=1
	s_or_b64 exec, exec, s[34:35]
	v_cmp_ne_u16_e32 vcc, s36, v19
	v_cndmask_b32_e32 v1, v18, v19, vcc
	s_min_u32 s34, s33, 4
	v_lshrrev_b32_sdwa v1, s38, v1 dst_sel:DWORD dst_unused:UNUSED_PAD src0_sel:DWORD src1_sel:WORD_0
	v_bfe_u32 v1, v1, 0, s34
	v_and_b32_e32 v2, 7, v1
	v_lshrrev_b32_e32 v1, 2, v1
	v_mad_u32_u24 v2, v2, 37, v0
	v_and_b32_e32 v1, 30, v1
	v_lshl_add_u32 v21, v2, 2, v1
	ds_read_u16 v20, v21
	s_waitcnt lgkmcnt(0)
	v_add_u16_e32 v1, 1, v20
	ds_write_b16 v21, v1
	s_waitcnt lgkmcnt(0)
	; wave barrier
	ds_read2_b64 v[5:8], v12 offset1:1
	ds_read2_b64 v[1:4], v12 offset0:2 offset1:3
	s_waitcnt lgkmcnt(1)
	v_add_u32_e32 v22, v6, v5
	v_add3_u32 v22, v22, v7, v8
	s_waitcnt lgkmcnt(0)
	v_add3_u32 v22, v22, v1, v2
	v_add3_u32 v4, v22, v3, v4
	s_nop 1
	v_mov_b32_dpp v22, v4 row_shr:1 row_mask:0xf bank_mask:0xf
	v_cndmask_b32_e64 v22, v22, 0, s[14:15]
	v_add_u32_e32 v4, v22, v4
	s_nop 1
	v_mov_b32_dpp v22, v4 row_shr:2 row_mask:0xf bank_mask:0xf
	v_cndmask_b32_e64 v22, 0, v22, s[12:13]
	v_add_u32_e32 v4, v4, v22
	;; [unrolled: 4-line block ×4, first 2 shown]
	s_nop 1
	v_mov_b32_dpp v22, v4 row_bcast:15 row_mask:0xf bank_mask:0xf
	v_cndmask_b32_e64 v22, v22, 0, s[6:7]
	v_add_u32_e32 v4, v4, v22
	s_nop 1
	v_mov_b32_dpp v22, v4 row_bcast:31 row_mask:0xf bank_mask:0xf
	v_cndmask_b32_e64 v22, 0, v22, s[4:5]
	v_add_u32_e32 v4, v4, v22
	s_and_saveexec_b64 s[34:35], s[2:3]
; %bb.13:                               ;   in Loop: Header=BB18_3 Depth=1
	ds_write_b32 v17, v4 offset:1184
; %bb.14:                               ;   in Loop: Header=BB18_3 Depth=1
	s_or_b64 exec, exec, s[34:35]
	ds_bpermute_b32 v4, v13, v4
	s_waitcnt lgkmcnt(0)
	; wave barrier
	ds_read_b32 v22, v17 offset:1184
	s_add_i32 s38, s38, 4
	v_cndmask_b32_e64 v4, v4, 0, s[0:1]
	s_cmp_ge_u32 s38, s39
	s_mov_b64 s[34:35], -1
	s_waitcnt lgkmcnt(0)
	v_lshl_add_u32 v4, v22, 16, v4
	v_add_u32_e32 v5, v4, v5
	v_add_u32_e32 v6, v5, v6
	;; [unrolled: 1-line block ×7, first 2 shown]
	ds_write2_b64 v12, v[4:5], v[6:7] offset1:1
	ds_write2_b64 v12, v[22:23], v[1:2] offset0:2 offset1:3
	s_waitcnt lgkmcnt(0)
	; wave barrier
	ds_read_u16 v1, v21
	v_mov_b32_e32 v2, 1
	v_lshlrev_b32_sdwa v2, v2, v20 dst_sel:DWORD dst_unused:UNUSED_PAD src0_sel:DWORD src1_sel:WORD_0
	s_waitcnt lgkmcnt(0)
	v_lshl_add_u32 v1, v1, 1, v2
                                        ; implicit-def: $vgpr2
	s_cbranch_scc1 .LBB18_2
; %bb.15:                               ;   in Loop: Header=BB18_3 Depth=1
	; wave barrier
	ds_write_b16 v1, v19
	s_waitcnt lgkmcnt(0)
	; wave barrier
	ds_read_u16 v2, v11
	s_add_i32 s33, s33, -4
	s_mov_b64 s[34:35], 0
	s_waitcnt lgkmcnt(0)
	; wave barrier
	s_branch .LBB18_2
.LBB18_16:
	s_mov_b64 s[20:21], 0
	; wave barrier
	ds_write_b16 v1, v19
	s_waitcnt lgkmcnt(0)
	; wave barrier
.LBB18_17:
	s_and_b64 vcc, exec, s[20:21]
	s_cbranch_vccz .LBB18_60
; %bb.18:
	s_and_saveexec_b64 s[18:19], s[16:17]
	s_cbranch_execz .LBB18_27
; %bb.19:
	s_movk_i32 s16, 0x103
	v_add_u32_e32 v1, v11, v16
	v_mov_b32_e32 v2, 0
	v_cmp_gt_u32_e32 vcc, s16, v0
	ds_write_b32 v1, v2
	s_and_b64 exec, exec, vcc
	s_cbranch_execz .LBB18_27
; %bb.20:
	s_movk_i32 s16, 0xde
	v_cmp_gt_u32_e32 vcc, s16, v0
	ds_write_b32 v1, v2 offset:148
	s_and_b64 exec, exec, vcc
	s_cbranch_execz .LBB18_27
; %bb.21:
	s_movk_i32 s16, 0xb9
	v_mov_b32_e32 v2, 0
	v_cmp_gt_u32_e32 vcc, s16, v0
	ds_write_b32 v1, v2 offset:296
	s_and_b64 exec, exec, vcc
	s_cbranch_execz .LBB18_27
; %bb.22:
	s_movk_i32 s16, 0x94
	v_cmp_gt_u32_e32 vcc, s16, v0
	ds_write_b32 v1, v2 offset:444
	s_and_b64 exec, exec, vcc
	s_cbranch_execz .LBB18_27
; %bb.23:
	s_movk_i32 s16, 0x6f
	v_mov_b32_e32 v2, 0
	v_cmp_gt_u32_e32 vcc, s16, v0
	ds_write_b32 v1, v2 offset:592
	s_and_b64 exec, exec, vcc
	s_cbranch_execz .LBB18_27
; %bb.24:
	s_movk_i32 s16, 0x4a
	v_cmp_gt_u32_e32 vcc, s16, v0
	ds_write_b32 v1, v2 offset:740
	s_and_b64 exec, exec, vcc
	s_cbranch_execz .LBB18_27
; %bb.25:
	v_mov_b32_e32 v2, 0
	v_cmp_gt_u32_e32 vcc, 37, v0
	ds_write_b32 v1, v2 offset:888
	s_and_b64 exec, exec, vcc
; %bb.26:
	ds_write_b32 v1, v2 offset:1036
.LBB18_27:
	s_or_b64 exec, exec, s[18:19]
	s_movk_i32 s16, 0x7fff
	v_and_b32_e32 v1, 15, v15
	v_cmp_ne_u16_e32 vcc, s16, v15
	v_cndmask_b32_e32 v1, 0, v1, vcc
	v_mov_b32_e32 v2, 7
	v_mov_b32_e32 v3, 2
	v_and_b32_sdwa v2, v1, v2 dst_sel:DWORD dst_unused:UNUSED_PAD src0_sel:WORD_0 src1_sel:DWORD
	v_lshrrev_b32_sdwa v1, v3, v1 dst_sel:DWORD dst_unused:UNUSED_PAD src0_sel:DWORD src1_sel:WORD_0
	v_mad_u32_u24 v2, v2, 37, v0
	v_and_b32_e32 v1, 2, v1
	v_lshl_or_b32 v17, v2, 2, v1
	ds_read_u16 v16, v17
	s_waitcnt lgkmcnt(0)
	v_add_u16_e32 v1, 1, v16
	ds_write_b16 v17, v1
	s_waitcnt lgkmcnt(0)
	; wave barrier
	ds_read2_b64 v[5:8], v12 offset1:1
	ds_read2_b64 v[1:4], v12 offset0:2 offset1:3
	s_waitcnt lgkmcnt(1)
	v_add_u32_e32 v18, v6, v5
	v_add3_u32 v18, v18, v7, v8
	s_waitcnt lgkmcnt(0)
	v_add3_u32 v18, v18, v1, v2
	v_add3_u32 v4, v18, v3, v4
	s_nop 1
	v_mov_b32_dpp v18, v4 row_shr:1 row_mask:0xf bank_mask:0xf
	v_cndmask_b32_e64 v18, v18, 0, s[14:15]
	v_add_u32_e32 v4, v18, v4
	s_nop 1
	v_mov_b32_dpp v18, v4 row_shr:2 row_mask:0xf bank_mask:0xf
	v_cndmask_b32_e64 v18, 0, v18, s[12:13]
	v_add_u32_e32 v4, v4, v18
	;; [unrolled: 4-line block ×4, first 2 shown]
	s_nop 1
	v_mov_b32_dpp v18, v4 row_bcast:15 row_mask:0xf bank_mask:0xf
	v_cndmask_b32_e64 v18, v18, 0, s[6:7]
	v_add_u32_e32 v4, v4, v18
	s_nop 1
	v_mov_b32_dpp v18, v4 row_bcast:31 row_mask:0xf bank_mask:0xf
	v_cndmask_b32_e64 v18, 0, v18, s[4:5]
	v_add_u32_e32 v4, v4, v18
	s_and_saveexec_b64 s[16:17], s[2:3]
; %bb.28:
	v_mov_b32_e32 v18, 0
	ds_write_b32 v18, v4 offset:1184
; %bb.29:
	s_or_b64 exec, exec, s[16:17]
	ds_bpermute_b32 v18, v13, v4
	v_mov_b32_e32 v4, 0
	s_waitcnt lgkmcnt(0)
	; wave barrier
	ds_read_b32 v19, v4 offset:1184
	v_cndmask_b32_e64 v18, v18, 0, s[0:1]
	s_movk_i32 s16, 0x103
	v_cmp_gt_u32_e32 vcc, s16, v0
	s_waitcnt lgkmcnt(0)
	v_lshl_add_u32 v18, v19, 16, v18
	v_add_u32_e32 v19, v18, v5
	v_add_u32_e32 v5, v19, v6
	;; [unrolled: 1-line block ×7, first 2 shown]
	ds_write2_b64 v12, v[18:19], v[5:6] offset1:1
	ds_write2_b64 v12, v[7:8], v[1:2] offset0:2 offset1:3
	s_waitcnt lgkmcnt(0)
	; wave barrier
	ds_read_u16 v1, v17
	v_mov_b32_e32 v2, 1
	v_lshlrev_b32_sdwa v2, v2, v16 dst_sel:DWORD dst_unused:UNUSED_PAD src0_sel:DWORD src1_sel:WORD_0
	s_waitcnt lgkmcnt(0)
	; wave barrier
	v_lshl_add_u32 v1, v1, 1, v2
	ds_write_b16 v1, v15
	s_waitcnt lgkmcnt(0)
	; wave barrier
	ds_read_u16 v15, v11
	s_waitcnt lgkmcnt(0)
	; wave barrier
	ds_write_b32 v14, v4
	s_and_saveexec_b64 s[18:19], vcc
	s_cbranch_execz .LBB18_37
; %bb.30:
	s_movk_i32 s16, 0xde
	v_cmp_gt_u32_e64 s[16:17], s16, v0
	ds_write_b32 v14, v4 offset:148
	s_and_b64 exec, exec, s[16:17]
	s_cbranch_execz .LBB18_37
; %bb.31:
	s_movk_i32 s16, 0xb9
	v_mov_b32_e32 v1, 0
	v_cmp_gt_u32_e64 s[16:17], s16, v0
	ds_write_b32 v14, v1 offset:296
	s_and_b64 exec, exec, s[16:17]
	s_cbranch_execz .LBB18_37
; %bb.32:
	s_movk_i32 s16, 0x94
	v_cmp_gt_u32_e64 s[16:17], s16, v0
	ds_write_b32 v14, v1 offset:444
	s_and_b64 exec, exec, s[16:17]
	s_cbranch_execz .LBB18_37
; %bb.33:
	s_movk_i32 s16, 0x6f
	v_mov_b32_e32 v1, 0
	v_cmp_gt_u32_e64 s[16:17], s16, v0
	ds_write_b32 v14, v1 offset:592
	s_and_b64 exec, exec, s[16:17]
	s_cbranch_execz .LBB18_37
; %bb.34:
	s_movk_i32 s16, 0x4a
	v_cmp_gt_u32_e64 s[16:17], s16, v0
	ds_write_b32 v14, v1 offset:740
	s_and_b64 exec, exec, s[16:17]
	s_cbranch_execz .LBB18_37
; %bb.35:
	v_mov_b32_e32 v1, 0
	v_cmp_gt_u32_e64 s[16:17], 37, v0
	ds_write_b32 v14, v1 offset:888
	s_and_b64 exec, exec, s[16:17]
; %bb.36:
	ds_write_b32 v14, v1 offset:1036
.LBB18_37:
	s_or_b64 exec, exec, s[18:19]
	v_lshrrev_b16_e32 v1, 4, v15
	s_movk_i32 s16, 0x7fff
	v_and_b32_e32 v1, 15, v1
	v_cmp_ne_u16_e64 s[16:17], s16, v15
	v_cndmask_b32_e64 v1, 0, v1, s[16:17]
	v_mov_b32_e32 v2, 7
	v_mov_b32_e32 v3, 2
	v_and_b32_sdwa v2, v1, v2 dst_sel:DWORD dst_unused:UNUSED_PAD src0_sel:WORD_0 src1_sel:DWORD
	v_lshrrev_b32_sdwa v1, v3, v1 dst_sel:DWORD dst_unused:UNUSED_PAD src0_sel:DWORD src1_sel:WORD_0
	v_mad_u32_u24 v2, v2, 37, v0
	v_and_b32_e32 v1, 2, v1
	v_lshl_or_b32 v17, v2, 2, v1
	ds_read_u16 v16, v17
	s_waitcnt lgkmcnt(0)
	v_add_u16_e32 v1, 1, v16
	ds_write_b16 v17, v1
	s_waitcnt lgkmcnt(0)
	; wave barrier
	ds_read2_b64 v[5:8], v12 offset1:1
	ds_read2_b64 v[1:4], v12 offset0:2 offset1:3
	s_waitcnt lgkmcnt(1)
	v_add_u32_e32 v18, v6, v5
	v_add3_u32 v18, v18, v7, v8
	s_waitcnt lgkmcnt(0)
	v_add3_u32 v18, v18, v1, v2
	v_add3_u32 v4, v18, v3, v4
	s_nop 1
	v_mov_b32_dpp v18, v4 row_shr:1 row_mask:0xf bank_mask:0xf
	v_cndmask_b32_e64 v18, v18, 0, s[14:15]
	v_add_u32_e32 v4, v18, v4
	s_nop 1
	v_mov_b32_dpp v18, v4 row_shr:2 row_mask:0xf bank_mask:0xf
	v_cndmask_b32_e64 v18, 0, v18, s[12:13]
	v_add_u32_e32 v4, v4, v18
	;; [unrolled: 4-line block ×4, first 2 shown]
	s_nop 1
	v_mov_b32_dpp v18, v4 row_bcast:15 row_mask:0xf bank_mask:0xf
	v_cndmask_b32_e64 v18, v18, 0, s[6:7]
	v_add_u32_e32 v4, v4, v18
	s_nop 1
	v_mov_b32_dpp v18, v4 row_bcast:31 row_mask:0xf bank_mask:0xf
	v_cndmask_b32_e64 v18, 0, v18, s[4:5]
	v_add_u32_e32 v4, v4, v18
	s_and_saveexec_b64 s[16:17], s[2:3]
; %bb.38:
	v_mov_b32_e32 v18, 0
	ds_write_b32 v18, v4 offset:1184
; %bb.39:
	s_or_b64 exec, exec, s[16:17]
	ds_bpermute_b32 v18, v13, v4
	v_mov_b32_e32 v4, 0
	s_waitcnt lgkmcnt(0)
	; wave barrier
	ds_read_b32 v19, v4 offset:1184
	v_cndmask_b32_e64 v18, v18, 0, s[0:1]
	s_waitcnt lgkmcnt(0)
	v_lshl_add_u32 v18, v19, 16, v18
	v_add_u32_e32 v19, v18, v5
	v_add_u32_e32 v5, v19, v6
	;; [unrolled: 1-line block ×7, first 2 shown]
	ds_write2_b64 v12, v[18:19], v[5:6] offset1:1
	ds_write2_b64 v12, v[7:8], v[1:2] offset0:2 offset1:3
	s_waitcnt lgkmcnt(0)
	; wave barrier
	ds_read_u16 v1, v17
	v_mov_b32_e32 v2, 1
	v_lshlrev_b32_sdwa v2, v2, v16 dst_sel:DWORD dst_unused:UNUSED_PAD src0_sel:DWORD src1_sel:WORD_0
	s_waitcnt lgkmcnt(0)
	; wave barrier
	v_lshl_add_u32 v1, v1, 1, v2
	ds_write_b16 v1, v15
	s_waitcnt lgkmcnt(0)
	; wave barrier
	ds_read_u16 v15, v11
	s_waitcnt lgkmcnt(0)
	; wave barrier
	ds_write_b32 v14, v4
	s_and_saveexec_b64 s[18:19], vcc
	s_cbranch_execz .LBB18_47
; %bb.40:
	s_movk_i32 s16, 0xde
	v_cmp_gt_u32_e64 s[16:17], s16, v0
	ds_write_b32 v14, v4 offset:148
	s_and_b64 exec, exec, s[16:17]
	s_cbranch_execz .LBB18_47
; %bb.41:
	s_movk_i32 s16, 0xb9
	v_mov_b32_e32 v1, 0
	v_cmp_gt_u32_e64 s[16:17], s16, v0
	ds_write_b32 v14, v1 offset:296
	s_and_b64 exec, exec, s[16:17]
	s_cbranch_execz .LBB18_47
; %bb.42:
	s_movk_i32 s16, 0x94
	v_cmp_gt_u32_e64 s[16:17], s16, v0
	ds_write_b32 v14, v1 offset:444
	s_and_b64 exec, exec, s[16:17]
	s_cbranch_execz .LBB18_47
; %bb.43:
	s_movk_i32 s16, 0x6f
	v_mov_b32_e32 v1, 0
	v_cmp_gt_u32_e64 s[16:17], s16, v0
	ds_write_b32 v14, v1 offset:592
	s_and_b64 exec, exec, s[16:17]
	s_cbranch_execz .LBB18_47
; %bb.44:
	s_movk_i32 s16, 0x4a
	v_cmp_gt_u32_e64 s[16:17], s16, v0
	ds_write_b32 v14, v1 offset:740
	s_and_b64 exec, exec, s[16:17]
	s_cbranch_execz .LBB18_47
; %bb.45:
	v_mov_b32_e32 v1, 0
	v_cmp_gt_u32_e64 s[16:17], 37, v0
	ds_write_b32 v14, v1 offset:888
	s_and_b64 exec, exec, s[16:17]
; %bb.46:
	ds_write_b32 v14, v1 offset:1036
.LBB18_47:
	s_or_b64 exec, exec, s[18:19]
	v_mov_b32_e32 v1, 15
	s_movk_i32 s16, 0x7fff
	v_and_b32_sdwa v1, v15, v1 dst_sel:DWORD dst_unused:UNUSED_PAD src0_sel:BYTE_1 src1_sel:DWORD
	v_cmp_ne_u16_e64 s[16:17], s16, v15
	v_cndmask_b32_e64 v1, 0, v1, s[16:17]
	v_mov_b32_e32 v2, 7
	v_mov_b32_e32 v3, 2
	v_and_b32_sdwa v2, v1, v2 dst_sel:DWORD dst_unused:UNUSED_PAD src0_sel:WORD_0 src1_sel:DWORD
	v_lshrrev_b32_sdwa v1, v3, v1 dst_sel:DWORD dst_unused:UNUSED_PAD src0_sel:DWORD src1_sel:WORD_0
	v_mad_u32_u24 v2, v2, 37, v0
	v_and_b32_e32 v1, 2, v1
	v_lshl_or_b32 v17, v2, 2, v1
	ds_read_u16 v16, v17
	s_waitcnt lgkmcnt(0)
	v_add_u16_e32 v1, 1, v16
	ds_write_b16 v17, v1
	s_waitcnt lgkmcnt(0)
	; wave barrier
	ds_read2_b64 v[5:8], v12 offset1:1
	ds_read2_b64 v[1:4], v12 offset0:2 offset1:3
	s_waitcnt lgkmcnt(1)
	v_add_u32_e32 v18, v6, v5
	v_add3_u32 v18, v18, v7, v8
	s_waitcnt lgkmcnt(0)
	v_add3_u32 v18, v18, v1, v2
	v_add3_u32 v4, v18, v3, v4
	s_nop 1
	v_mov_b32_dpp v18, v4 row_shr:1 row_mask:0xf bank_mask:0xf
	v_cndmask_b32_e64 v18, v18, 0, s[14:15]
	v_add_u32_e32 v4, v18, v4
	s_nop 1
	v_mov_b32_dpp v18, v4 row_shr:2 row_mask:0xf bank_mask:0xf
	v_cndmask_b32_e64 v18, 0, v18, s[12:13]
	v_add_u32_e32 v4, v4, v18
	;; [unrolled: 4-line block ×4, first 2 shown]
	s_nop 1
	v_mov_b32_dpp v18, v4 row_bcast:15 row_mask:0xf bank_mask:0xf
	v_cndmask_b32_e64 v18, v18, 0, s[6:7]
	v_add_u32_e32 v4, v4, v18
	s_nop 1
	v_mov_b32_dpp v18, v4 row_bcast:31 row_mask:0xf bank_mask:0xf
	v_cndmask_b32_e64 v18, 0, v18, s[4:5]
	v_add_u32_e32 v4, v4, v18
	s_and_saveexec_b64 s[16:17], s[2:3]
; %bb.48:
	v_mov_b32_e32 v18, 0
	ds_write_b32 v18, v4 offset:1184
; %bb.49:
	s_or_b64 exec, exec, s[16:17]
	ds_bpermute_b32 v18, v13, v4
	v_mov_b32_e32 v4, 0
	s_waitcnt lgkmcnt(0)
	; wave barrier
	ds_read_b32 v19, v4 offset:1184
	v_cndmask_b32_e64 v18, v18, 0, s[0:1]
	s_waitcnt lgkmcnt(0)
	v_lshl_add_u32 v18, v19, 16, v18
	v_add_u32_e32 v19, v18, v5
	v_add_u32_e32 v5, v19, v6
	;; [unrolled: 1-line block ×7, first 2 shown]
	ds_write2_b64 v12, v[18:19], v[5:6] offset1:1
	ds_write2_b64 v12, v[7:8], v[1:2] offset0:2 offset1:3
	s_waitcnt lgkmcnt(0)
	; wave barrier
	ds_read_u16 v1, v17
	v_mov_b32_e32 v2, 1
	v_lshlrev_b32_sdwa v2, v2, v16 dst_sel:DWORD dst_unused:UNUSED_PAD src0_sel:DWORD src1_sel:WORD_0
	s_waitcnt lgkmcnt(0)
	; wave barrier
	v_lshl_add_u32 v1, v1, 1, v2
	ds_write_b16 v1, v15
	s_waitcnt lgkmcnt(0)
	; wave barrier
	ds_read_u16 v8, v11
	s_waitcnt lgkmcnt(0)
	; wave barrier
	ds_write_b32 v14, v4
	s_and_saveexec_b64 s[16:17], vcc
	s_cbranch_execz .LBB18_57
; %bb.50:
	s_movk_i32 s18, 0xde
	v_cmp_gt_u32_e32 vcc, s18, v0
	ds_write_b32 v14, v4 offset:148
	s_and_b64 exec, exec, vcc
	s_cbranch_execz .LBB18_57
; %bb.51:
	s_movk_i32 s18, 0xb9
	v_mov_b32_e32 v1, 0
	v_cmp_gt_u32_e32 vcc, s18, v0
	ds_write_b32 v14, v1 offset:296
	s_and_b64 exec, exec, vcc
	s_cbranch_execz .LBB18_57
; %bb.52:
	s_movk_i32 s18, 0x94
	v_cmp_gt_u32_e32 vcc, s18, v0
	ds_write_b32 v14, v1 offset:444
	s_and_b64 exec, exec, vcc
	s_cbranch_execz .LBB18_57
; %bb.53:
	s_movk_i32 s18, 0x6f
	v_mov_b32_e32 v1, 0
	v_cmp_gt_u32_e32 vcc, s18, v0
	ds_write_b32 v14, v1 offset:592
	s_and_b64 exec, exec, vcc
	s_cbranch_execz .LBB18_57
; %bb.54:
	s_movk_i32 s18, 0x4a
	v_cmp_gt_u32_e32 vcc, s18, v0
	ds_write_b32 v14, v1 offset:740
	s_and_b64 exec, exec, vcc
	s_cbranch_execz .LBB18_57
; %bb.55:
	v_mov_b32_e32 v1, 0
	v_cmp_gt_u32_e32 vcc, 37, v0
	ds_write_b32 v14, v1 offset:888
	s_and_b64 exec, exec, vcc
; %bb.56:
	ds_write_b32 v14, v1 offset:1036
.LBB18_57:
	s_or_b64 exec, exec, s[16:17]
	s_movk_i32 s16, 0x7fff
	v_lshrrev_b16_e32 v1, 12, v8
	v_cmp_ne_u16_e32 vcc, s16, v8
	v_cndmask_b32_e32 v1, 8, v1, vcc
	v_mov_b32_e32 v2, 7
	v_and_b32_sdwa v2, v1, v2 dst_sel:DWORD dst_unused:UNUSED_PAD src0_sel:WORD_0 src1_sel:DWORD
	v_mad_u32_u24 v0, v2, 37, v0
	v_mov_b32_e32 v2, 2
	v_lshrrev_b32_sdwa v1, v2, v1 dst_sel:DWORD dst_unused:UNUSED_PAD src0_sel:DWORD src1_sel:WORD_0
	v_and_b32_e32 v1, 2, v1
	v_lshl_or_b32 v15, v0, 2, v1
	ds_read_u16 v14, v15
	s_waitcnt lgkmcnt(0)
	v_add_u16_e32 v0, 1, v14
	ds_write_b16 v15, v0
	s_waitcnt lgkmcnt(0)
	; wave barrier
	ds_read2_b64 v[4:7], v12 offset1:1
	ds_read2_b64 v[0:3], v12 offset0:2 offset1:3
	s_waitcnt lgkmcnt(1)
	v_add_u32_e32 v16, v5, v4
	v_add3_u32 v16, v16, v6, v7
	s_waitcnt lgkmcnt(0)
	v_add3_u32 v16, v16, v0, v1
	v_add3_u32 v3, v16, v2, v3
	s_nop 1
	v_mov_b32_dpp v16, v3 row_shr:1 row_mask:0xf bank_mask:0xf
	v_cndmask_b32_e64 v16, v16, 0, s[14:15]
	v_add_u32_e32 v3, v16, v3
	s_nop 1
	v_mov_b32_dpp v16, v3 row_shr:2 row_mask:0xf bank_mask:0xf
	v_cndmask_b32_e64 v16, 0, v16, s[12:13]
	v_add_u32_e32 v3, v3, v16
	;; [unrolled: 4-line block ×4, first 2 shown]
	s_nop 1
	v_mov_b32_dpp v16, v3 row_bcast:15 row_mask:0xf bank_mask:0xf
	v_cndmask_b32_e64 v16, v16, 0, s[6:7]
	v_add_u32_e32 v3, v3, v16
	s_nop 1
	v_mov_b32_dpp v16, v3 row_bcast:31 row_mask:0xf bank_mask:0xf
	v_cndmask_b32_e64 v16, 0, v16, s[4:5]
	v_add_u32_e32 v3, v3, v16
	s_and_saveexec_b64 s[4:5], s[2:3]
; %bb.58:
	v_mov_b32_e32 v16, 0
	ds_write_b32 v16, v3 offset:1184
; %bb.59:
	s_or_b64 exec, exec, s[4:5]
	ds_bpermute_b32 v3, v13, v3
	v_mov_b32_e32 v13, 0
	s_waitcnt lgkmcnt(0)
	; wave barrier
	ds_read_b32 v13, v13 offset:1184
	v_cndmask_b32_e64 v3, v3, 0, s[0:1]
	s_waitcnt lgkmcnt(0)
	v_lshl_add_u32 v3, v13, 16, v3
	v_add_u32_e32 v4, v3, v4
	v_add_u32_e32 v5, v4, v5
	;; [unrolled: 1-line block ×7, first 2 shown]
	ds_write2_b64 v12, v[3:4], v[5:6] offset1:1
	ds_write2_b64 v12, v[16:17], v[0:1] offset0:2 offset1:3
	s_waitcnt lgkmcnt(0)
	; wave barrier
	ds_read_u16 v0, v15
	v_mov_b32_e32 v1, 1
	v_lshlrev_b32_sdwa v1, v1, v14 dst_sel:DWORD dst_unused:UNUSED_PAD src0_sel:DWORD src1_sel:WORD_0
	s_waitcnt lgkmcnt(0)
	; wave barrier
	v_lshl_add_u32 v0, v0, 1, v1
	ds_write_b16 v0, v8
	s_waitcnt lgkmcnt(0)
	; wave barrier
.LBB18_60:
	ds_read_u16 v0, v11
	v_mov_b32_e32 v1, 0xffff8000
	s_waitcnt lgkmcnt(0)
	v_cmp_lt_i16_e32 vcc, -1, v0
	v_cndmask_b32_e64 v1, v1, -1, vcc
	v_xor_b32_e32 v0, v1, v0
	global_store_short v[9:10], v0, off
	s_endpgm
	.section	.rodata,"a",@progbits
	.p2align	6, 0x0
	.amdhsa_kernel _Z15sort_key_kernelILj37ELj1ELb0ELb0E6__halfEvPT3_jj
		.amdhsa_group_segment_fixed_size 1200
		.amdhsa_private_segment_fixed_size 0
		.amdhsa_kernarg_size 16
		.amdhsa_user_sgpr_count 6
		.amdhsa_user_sgpr_private_segment_buffer 1
		.amdhsa_user_sgpr_dispatch_ptr 0
		.amdhsa_user_sgpr_queue_ptr 0
		.amdhsa_user_sgpr_kernarg_segment_ptr 1
		.amdhsa_user_sgpr_dispatch_id 0
		.amdhsa_user_sgpr_flat_scratch_init 0
		.amdhsa_user_sgpr_private_segment_size 0
		.amdhsa_uses_dynamic_stack 0
		.amdhsa_system_sgpr_private_segment_wavefront_offset 0
		.amdhsa_system_sgpr_workgroup_id_x 1
		.amdhsa_system_sgpr_workgroup_id_y 0
		.amdhsa_system_sgpr_workgroup_id_z 0
		.amdhsa_system_sgpr_workgroup_info 0
		.amdhsa_system_vgpr_workitem_id 0
		.amdhsa_next_free_vgpr 24
		.amdhsa_next_free_sgpr 40
		.amdhsa_reserve_vcc 1
		.amdhsa_reserve_flat_scratch 0
		.amdhsa_float_round_mode_32 0
		.amdhsa_float_round_mode_16_64 0
		.amdhsa_float_denorm_mode_32 3
		.amdhsa_float_denorm_mode_16_64 3
		.amdhsa_dx10_clamp 1
		.amdhsa_ieee_mode 1
		.amdhsa_fp16_overflow 0
		.amdhsa_exception_fp_ieee_invalid_op 0
		.amdhsa_exception_fp_denorm_src 0
		.amdhsa_exception_fp_ieee_div_zero 0
		.amdhsa_exception_fp_ieee_overflow 0
		.amdhsa_exception_fp_ieee_underflow 0
		.amdhsa_exception_fp_ieee_inexact 0
		.amdhsa_exception_int_div_zero 0
	.end_amdhsa_kernel
	.section	.text._Z15sort_key_kernelILj37ELj1ELb0ELb0E6__halfEvPT3_jj,"axG",@progbits,_Z15sort_key_kernelILj37ELj1ELb0ELb0E6__halfEvPT3_jj,comdat
.Lfunc_end18:
	.size	_Z15sort_key_kernelILj37ELj1ELb0ELb0E6__halfEvPT3_jj, .Lfunc_end18-_Z15sort_key_kernelILj37ELj1ELb0ELb0E6__halfEvPT3_jj
                                        ; -- End function
	.set _Z15sort_key_kernelILj37ELj1ELb0ELb0E6__halfEvPT3_jj.num_vgpr, 24
	.set _Z15sort_key_kernelILj37ELj1ELb0ELb0E6__halfEvPT3_jj.num_agpr, 0
	.set _Z15sort_key_kernelILj37ELj1ELb0ELb0E6__halfEvPT3_jj.numbered_sgpr, 40
	.set _Z15sort_key_kernelILj37ELj1ELb0ELb0E6__halfEvPT3_jj.num_named_barrier, 0
	.set _Z15sort_key_kernelILj37ELj1ELb0ELb0E6__halfEvPT3_jj.private_seg_size, 0
	.set _Z15sort_key_kernelILj37ELj1ELb0ELb0E6__halfEvPT3_jj.uses_vcc, 1
	.set _Z15sort_key_kernelILj37ELj1ELb0ELb0E6__halfEvPT3_jj.uses_flat_scratch, 0
	.set _Z15sort_key_kernelILj37ELj1ELb0ELb0E6__halfEvPT3_jj.has_dyn_sized_stack, 0
	.set _Z15sort_key_kernelILj37ELj1ELb0ELb0E6__halfEvPT3_jj.has_recursion, 0
	.set _Z15sort_key_kernelILj37ELj1ELb0ELb0E6__halfEvPT3_jj.has_indirect_call, 0
	.section	.AMDGPU.csdata,"",@progbits
; Kernel info:
; codeLenInByte = 3644
; TotalNumSgprs: 44
; NumVgprs: 24
; ScratchSize: 0
; MemoryBound: 0
; FloatMode: 240
; IeeeMode: 1
; LDSByteSize: 1200 bytes/workgroup (compile time only)
; SGPRBlocks: 5
; VGPRBlocks: 5
; NumSGPRsForWavesPerEU: 44
; NumVGPRsForWavesPerEU: 24
; Occupancy: 10
; WaveLimiterHint : 0
; COMPUTE_PGM_RSRC2:SCRATCH_EN: 0
; COMPUTE_PGM_RSRC2:USER_SGPR: 6
; COMPUTE_PGM_RSRC2:TRAP_HANDLER: 0
; COMPUTE_PGM_RSRC2:TGID_X_EN: 1
; COMPUTE_PGM_RSRC2:TGID_Y_EN: 0
; COMPUTE_PGM_RSRC2:TGID_Z_EN: 0
; COMPUTE_PGM_RSRC2:TIDIG_COMP_CNT: 0
	.section	.text._Z15sort_key_kernelILj37ELj1ELb0ELb0E12hip_bfloat16EvPT3_jj,"axG",@progbits,_Z15sort_key_kernelILj37ELj1ELb0ELb0E12hip_bfloat16EvPT3_jj,comdat
	.protected	_Z15sort_key_kernelILj37ELj1ELb0ELb0E12hip_bfloat16EvPT3_jj ; -- Begin function _Z15sort_key_kernelILj37ELj1ELb0ELb0E12hip_bfloat16EvPT3_jj
	.globl	_Z15sort_key_kernelILj37ELj1ELb0ELb0E12hip_bfloat16EvPT3_jj
	.p2align	8
	.type	_Z15sort_key_kernelILj37ELj1ELb0ELb0E12hip_bfloat16EvPT3_jj,@function
_Z15sort_key_kernelILj37ELj1ELb0ELb0E12hip_bfloat16EvPT3_jj: ; @_Z15sort_key_kernelILj37ELj1ELb0ELb0E12hip_bfloat16EvPT3_jj
; %bb.0:
	s_load_dwordx4 s[36:39], s[4:5], 0x0
	s_mul_i32 s0, s6, 37
	s_mov_b32 s1, 0
	s_lshl_b64 s[0:1], s[0:1], 1
	v_lshlrev_b32_e32 v16, 1, v0
	s_waitcnt lgkmcnt(0)
	s_add_u32 s18, s36, s0
	s_addc_u32 s19, s37, s1
	global_load_ushort v1, v16, s[18:19]
	v_mbcnt_lo_u32_b32 v2, -1, 0
	s_movk_i32 s0, 0x128
	v_mbcnt_hi_u32_b32 v2, -1, v2
	v_cmp_gt_u32_e64 s[16:17], s0, v0
	v_subrev_co_u32_e64 v5, s[0:1], 1, v2
	v_and_b32_e32 v6, 64, v2
	v_cmp_lt_i32_e32 vcc, v5, v6
	v_and_b32_e32 v3, 15, v2
	v_and_b32_e32 v4, 16, v2
	v_cmp_lt_u32_e64 s[4:5], 31, v2
	v_cndmask_b32_e32 v2, v5, v2, vcc
	s_cmp_eq_u32 s38, 0
	v_lshlrev_b32_e32 v13, 2, v2
	v_mov_b32_e32 v2, s19
	v_add_co_u32_e32 v9, vcc, s18, v16
	s_cselect_b64 s[18:19], -1, 0
	s_cmp_eq_u32 s39, 16
	s_cselect_b64 s[22:23], -1, 0
	v_addc_co_u32_e32 v10, vcc, 0, v2, vcc
	s_and_b64 s[18:19], s[18:19], s[22:23]
	v_mov_b32_e32 v18, 0xffff8000
	s_and_b64 vcc, exec, s[18:19]
	s_movk_i32 s6, 0xffe2
	v_lshlrev_b32_e32 v12, 5, v0
	v_mov_b32_e32 v17, 0
	s_mov_b64 s[20:21], -1
	v_cmp_eq_u32_e64 s[2:3], 36, v0
	v_lshlrev_b32_e32 v14, 2, v0
	v_mad_i32_i24 v11, v0, s6, v12
	v_cmp_eq_u32_e64 s[14:15], 0, v3
	v_cmp_lt_u32_e64 s[12:13], 1, v3
	v_cmp_lt_u32_e64 s[10:11], 3, v3
	;; [unrolled: 1-line block ×3, first 2 shown]
	v_cmp_eq_u32_e64 s[6:7], 0, v4
	s_waitcnt vmcnt(0)
	v_cmp_lt_i16_e64 s[18:19], -1, v1
	v_cndmask_b32_e64 v2, -1, v18, s[18:19]
	v_xor_b32_e32 v15, v2, v1
	s_cbranch_vccnz .LBB19_17
; %bb.1:
	s_movk_i32 s18, 0x103
	s_movk_i32 s20, 0xde
	s_movk_i32 s22, 0xb9
	s_movk_i32 s24, 0x94
	s_movk_i32 s26, 0x6f
	s_movk_i32 s28, 0x4a
	v_cmp_gt_u32_e64 s[18:19], s18, v0
	v_cmp_gt_u32_e64 s[20:21], s20, v0
	;; [unrolled: 1-line block ×7, first 2 shown]
	s_sub_i32 s33, s39, s38
	s_movk_i32 s36, 0x7fff
	v_mov_b32_e32 v2, v15
	s_branch .LBB19_3
.LBB19_2:                               ;   in Loop: Header=BB19_3 Depth=1
	s_andn2_b64 vcc, exec, s[34:35]
	s_cbranch_vccz .LBB19_16
.LBB19_3:                               ; =>This Inner Loop Header: Depth=1
	v_mov_b32_e32 v19, v2
	s_and_saveexec_b64 s[34:35], s[16:17]
	s_cbranch_execz .LBB19_12
; %bb.4:                                ;   in Loop: Header=BB19_3 Depth=1
	ds_write_b32 v14, v17
	s_and_b64 exec, exec, s[18:19]
	s_cbranch_execz .LBB19_12
; %bb.5:                                ;   in Loop: Header=BB19_3 Depth=1
	ds_write_b32 v14, v17 offset:148
	s_and_b64 exec, exec, s[20:21]
	s_cbranch_execz .LBB19_12
; %bb.6:                                ;   in Loop: Header=BB19_3 Depth=1
	ds_write_b32 v14, v17 offset:296
	;; [unrolled: 4-line block ×5, first 2 shown]
	s_and_b64 exec, exec, s[28:29]
	s_cbranch_execz .LBB19_12
; %bb.10:                               ;   in Loop: Header=BB19_3 Depth=1
	ds_write_b32 v14, v17 offset:888
	s_and_b64 exec, exec, s[30:31]
; %bb.11:                               ;   in Loop: Header=BB19_3 Depth=1
	ds_write_b32 v14, v17 offset:1036
.LBB19_12:                              ;   in Loop: Header=BB19_3 Depth=1
	s_or_b64 exec, exec, s[34:35]
	v_cmp_ne_u16_e32 vcc, s36, v19
	v_cndmask_b32_e32 v1, v18, v19, vcc
	s_min_u32 s34, s33, 4
	v_lshrrev_b32_sdwa v1, s38, v1 dst_sel:DWORD dst_unused:UNUSED_PAD src0_sel:DWORD src1_sel:WORD_0
	v_bfe_u32 v1, v1, 0, s34
	v_and_b32_e32 v2, 7, v1
	v_lshrrev_b32_e32 v1, 2, v1
	v_mad_u32_u24 v2, v2, 37, v0
	v_and_b32_e32 v1, 30, v1
	v_lshl_add_u32 v21, v2, 2, v1
	ds_read_u16 v20, v21
	s_waitcnt lgkmcnt(0)
	v_add_u16_e32 v1, 1, v20
	ds_write_b16 v21, v1
	s_waitcnt lgkmcnt(0)
	; wave barrier
	ds_read2_b64 v[5:8], v12 offset1:1
	ds_read2_b64 v[1:4], v12 offset0:2 offset1:3
	s_waitcnt lgkmcnt(1)
	v_add_u32_e32 v22, v6, v5
	v_add3_u32 v22, v22, v7, v8
	s_waitcnt lgkmcnt(0)
	v_add3_u32 v22, v22, v1, v2
	v_add3_u32 v4, v22, v3, v4
	s_nop 1
	v_mov_b32_dpp v22, v4 row_shr:1 row_mask:0xf bank_mask:0xf
	v_cndmask_b32_e64 v22, v22, 0, s[14:15]
	v_add_u32_e32 v4, v22, v4
	s_nop 1
	v_mov_b32_dpp v22, v4 row_shr:2 row_mask:0xf bank_mask:0xf
	v_cndmask_b32_e64 v22, 0, v22, s[12:13]
	v_add_u32_e32 v4, v4, v22
	;; [unrolled: 4-line block ×4, first 2 shown]
	s_nop 1
	v_mov_b32_dpp v22, v4 row_bcast:15 row_mask:0xf bank_mask:0xf
	v_cndmask_b32_e64 v22, v22, 0, s[6:7]
	v_add_u32_e32 v4, v4, v22
	s_nop 1
	v_mov_b32_dpp v22, v4 row_bcast:31 row_mask:0xf bank_mask:0xf
	v_cndmask_b32_e64 v22, 0, v22, s[4:5]
	v_add_u32_e32 v4, v4, v22
	s_and_saveexec_b64 s[34:35], s[2:3]
; %bb.13:                               ;   in Loop: Header=BB19_3 Depth=1
	ds_write_b32 v17, v4 offset:1184
; %bb.14:                               ;   in Loop: Header=BB19_3 Depth=1
	s_or_b64 exec, exec, s[34:35]
	ds_bpermute_b32 v4, v13, v4
	s_waitcnt lgkmcnt(0)
	; wave barrier
	ds_read_b32 v22, v17 offset:1184
	s_add_i32 s38, s38, 4
	v_cndmask_b32_e64 v4, v4, 0, s[0:1]
	s_cmp_ge_u32 s38, s39
	s_mov_b64 s[34:35], -1
	s_waitcnt lgkmcnt(0)
	v_lshl_add_u32 v4, v22, 16, v4
	v_add_u32_e32 v5, v4, v5
	v_add_u32_e32 v6, v5, v6
	;; [unrolled: 1-line block ×7, first 2 shown]
	ds_write2_b64 v12, v[4:5], v[6:7] offset1:1
	ds_write2_b64 v12, v[22:23], v[1:2] offset0:2 offset1:3
	s_waitcnt lgkmcnt(0)
	; wave barrier
	ds_read_u16 v1, v21
	v_mov_b32_e32 v2, 1
	v_lshlrev_b32_sdwa v2, v2, v20 dst_sel:DWORD dst_unused:UNUSED_PAD src0_sel:DWORD src1_sel:WORD_0
	s_waitcnt lgkmcnt(0)
	v_lshl_add_u32 v1, v1, 1, v2
                                        ; implicit-def: $vgpr2
	s_cbranch_scc1 .LBB19_2
; %bb.15:                               ;   in Loop: Header=BB19_3 Depth=1
	; wave barrier
	ds_write_b16 v1, v19
	s_waitcnt lgkmcnt(0)
	; wave barrier
	ds_read_u16 v2, v11
	s_add_i32 s33, s33, -4
	s_mov_b64 s[34:35], 0
	s_waitcnt lgkmcnt(0)
	; wave barrier
	s_branch .LBB19_2
.LBB19_16:
	s_mov_b64 s[20:21], 0
	; wave barrier
	ds_write_b16 v1, v19
	s_waitcnt lgkmcnt(0)
	; wave barrier
.LBB19_17:
	s_and_b64 vcc, exec, s[20:21]
	s_cbranch_vccz .LBB19_60
; %bb.18:
	s_and_saveexec_b64 s[18:19], s[16:17]
	s_cbranch_execz .LBB19_27
; %bb.19:
	s_movk_i32 s16, 0x103
	v_add_u32_e32 v1, v11, v16
	v_mov_b32_e32 v2, 0
	v_cmp_gt_u32_e32 vcc, s16, v0
	ds_write_b32 v1, v2
	s_and_b64 exec, exec, vcc
	s_cbranch_execz .LBB19_27
; %bb.20:
	s_movk_i32 s16, 0xde
	v_cmp_gt_u32_e32 vcc, s16, v0
	ds_write_b32 v1, v2 offset:148
	s_and_b64 exec, exec, vcc
	s_cbranch_execz .LBB19_27
; %bb.21:
	s_movk_i32 s16, 0xb9
	v_mov_b32_e32 v2, 0
	v_cmp_gt_u32_e32 vcc, s16, v0
	ds_write_b32 v1, v2 offset:296
	s_and_b64 exec, exec, vcc
	s_cbranch_execz .LBB19_27
; %bb.22:
	s_movk_i32 s16, 0x94
	v_cmp_gt_u32_e32 vcc, s16, v0
	ds_write_b32 v1, v2 offset:444
	s_and_b64 exec, exec, vcc
	s_cbranch_execz .LBB19_27
; %bb.23:
	s_movk_i32 s16, 0x6f
	v_mov_b32_e32 v2, 0
	v_cmp_gt_u32_e32 vcc, s16, v0
	ds_write_b32 v1, v2 offset:592
	s_and_b64 exec, exec, vcc
	s_cbranch_execz .LBB19_27
; %bb.24:
	s_movk_i32 s16, 0x4a
	v_cmp_gt_u32_e32 vcc, s16, v0
	ds_write_b32 v1, v2 offset:740
	s_and_b64 exec, exec, vcc
	s_cbranch_execz .LBB19_27
; %bb.25:
	v_mov_b32_e32 v2, 0
	v_cmp_gt_u32_e32 vcc, 37, v0
	ds_write_b32 v1, v2 offset:888
	s_and_b64 exec, exec, vcc
; %bb.26:
	ds_write_b32 v1, v2 offset:1036
.LBB19_27:
	s_or_b64 exec, exec, s[18:19]
	s_movk_i32 s16, 0x7fff
	v_and_b32_e32 v1, 15, v15
	v_cmp_ne_u16_e32 vcc, s16, v15
	v_cndmask_b32_e32 v1, 0, v1, vcc
	v_mov_b32_e32 v2, 7
	v_mov_b32_e32 v3, 2
	v_and_b32_sdwa v2, v1, v2 dst_sel:DWORD dst_unused:UNUSED_PAD src0_sel:WORD_0 src1_sel:DWORD
	v_lshrrev_b32_sdwa v1, v3, v1 dst_sel:DWORD dst_unused:UNUSED_PAD src0_sel:DWORD src1_sel:WORD_0
	v_mad_u32_u24 v2, v2, 37, v0
	v_and_b32_e32 v1, 2, v1
	v_lshl_or_b32 v17, v2, 2, v1
	ds_read_u16 v16, v17
	s_waitcnt lgkmcnt(0)
	v_add_u16_e32 v1, 1, v16
	ds_write_b16 v17, v1
	s_waitcnt lgkmcnt(0)
	; wave barrier
	ds_read2_b64 v[5:8], v12 offset1:1
	ds_read2_b64 v[1:4], v12 offset0:2 offset1:3
	s_waitcnt lgkmcnt(1)
	v_add_u32_e32 v18, v6, v5
	v_add3_u32 v18, v18, v7, v8
	s_waitcnt lgkmcnt(0)
	v_add3_u32 v18, v18, v1, v2
	v_add3_u32 v4, v18, v3, v4
	s_nop 1
	v_mov_b32_dpp v18, v4 row_shr:1 row_mask:0xf bank_mask:0xf
	v_cndmask_b32_e64 v18, v18, 0, s[14:15]
	v_add_u32_e32 v4, v18, v4
	s_nop 1
	v_mov_b32_dpp v18, v4 row_shr:2 row_mask:0xf bank_mask:0xf
	v_cndmask_b32_e64 v18, 0, v18, s[12:13]
	v_add_u32_e32 v4, v4, v18
	;; [unrolled: 4-line block ×4, first 2 shown]
	s_nop 1
	v_mov_b32_dpp v18, v4 row_bcast:15 row_mask:0xf bank_mask:0xf
	v_cndmask_b32_e64 v18, v18, 0, s[6:7]
	v_add_u32_e32 v4, v4, v18
	s_nop 1
	v_mov_b32_dpp v18, v4 row_bcast:31 row_mask:0xf bank_mask:0xf
	v_cndmask_b32_e64 v18, 0, v18, s[4:5]
	v_add_u32_e32 v4, v4, v18
	s_and_saveexec_b64 s[16:17], s[2:3]
; %bb.28:
	v_mov_b32_e32 v18, 0
	ds_write_b32 v18, v4 offset:1184
; %bb.29:
	s_or_b64 exec, exec, s[16:17]
	ds_bpermute_b32 v18, v13, v4
	v_mov_b32_e32 v4, 0
	s_waitcnt lgkmcnt(0)
	; wave barrier
	ds_read_b32 v19, v4 offset:1184
	v_cndmask_b32_e64 v18, v18, 0, s[0:1]
	s_movk_i32 s16, 0x103
	v_cmp_gt_u32_e32 vcc, s16, v0
	s_waitcnt lgkmcnt(0)
	v_lshl_add_u32 v18, v19, 16, v18
	v_add_u32_e32 v19, v18, v5
	v_add_u32_e32 v5, v19, v6
	;; [unrolled: 1-line block ×7, first 2 shown]
	ds_write2_b64 v12, v[18:19], v[5:6] offset1:1
	ds_write2_b64 v12, v[7:8], v[1:2] offset0:2 offset1:3
	s_waitcnt lgkmcnt(0)
	; wave barrier
	ds_read_u16 v1, v17
	v_mov_b32_e32 v2, 1
	v_lshlrev_b32_sdwa v2, v2, v16 dst_sel:DWORD dst_unused:UNUSED_PAD src0_sel:DWORD src1_sel:WORD_0
	s_waitcnt lgkmcnt(0)
	; wave barrier
	v_lshl_add_u32 v1, v1, 1, v2
	ds_write_b16 v1, v15
	s_waitcnt lgkmcnt(0)
	; wave barrier
	ds_read_u16 v15, v11
	s_waitcnt lgkmcnt(0)
	; wave barrier
	ds_write_b32 v14, v4
	s_and_saveexec_b64 s[18:19], vcc
	s_cbranch_execz .LBB19_37
; %bb.30:
	s_movk_i32 s16, 0xde
	v_cmp_gt_u32_e64 s[16:17], s16, v0
	ds_write_b32 v14, v4 offset:148
	s_and_b64 exec, exec, s[16:17]
	s_cbranch_execz .LBB19_37
; %bb.31:
	s_movk_i32 s16, 0xb9
	v_mov_b32_e32 v1, 0
	v_cmp_gt_u32_e64 s[16:17], s16, v0
	ds_write_b32 v14, v1 offset:296
	s_and_b64 exec, exec, s[16:17]
	s_cbranch_execz .LBB19_37
; %bb.32:
	s_movk_i32 s16, 0x94
	v_cmp_gt_u32_e64 s[16:17], s16, v0
	ds_write_b32 v14, v1 offset:444
	s_and_b64 exec, exec, s[16:17]
	s_cbranch_execz .LBB19_37
; %bb.33:
	s_movk_i32 s16, 0x6f
	v_mov_b32_e32 v1, 0
	v_cmp_gt_u32_e64 s[16:17], s16, v0
	ds_write_b32 v14, v1 offset:592
	s_and_b64 exec, exec, s[16:17]
	s_cbranch_execz .LBB19_37
; %bb.34:
	s_movk_i32 s16, 0x4a
	v_cmp_gt_u32_e64 s[16:17], s16, v0
	ds_write_b32 v14, v1 offset:740
	s_and_b64 exec, exec, s[16:17]
	s_cbranch_execz .LBB19_37
; %bb.35:
	v_mov_b32_e32 v1, 0
	v_cmp_gt_u32_e64 s[16:17], 37, v0
	ds_write_b32 v14, v1 offset:888
	s_and_b64 exec, exec, s[16:17]
; %bb.36:
	ds_write_b32 v14, v1 offset:1036
.LBB19_37:
	s_or_b64 exec, exec, s[18:19]
	v_lshrrev_b16_e32 v1, 4, v15
	s_movk_i32 s16, 0x7fff
	v_and_b32_e32 v1, 15, v1
	v_cmp_ne_u16_e64 s[16:17], s16, v15
	v_cndmask_b32_e64 v1, 0, v1, s[16:17]
	v_mov_b32_e32 v2, 7
	v_mov_b32_e32 v3, 2
	v_and_b32_sdwa v2, v1, v2 dst_sel:DWORD dst_unused:UNUSED_PAD src0_sel:WORD_0 src1_sel:DWORD
	v_lshrrev_b32_sdwa v1, v3, v1 dst_sel:DWORD dst_unused:UNUSED_PAD src0_sel:DWORD src1_sel:WORD_0
	v_mad_u32_u24 v2, v2, 37, v0
	v_and_b32_e32 v1, 2, v1
	v_lshl_or_b32 v17, v2, 2, v1
	ds_read_u16 v16, v17
	s_waitcnt lgkmcnt(0)
	v_add_u16_e32 v1, 1, v16
	ds_write_b16 v17, v1
	s_waitcnt lgkmcnt(0)
	; wave barrier
	ds_read2_b64 v[5:8], v12 offset1:1
	ds_read2_b64 v[1:4], v12 offset0:2 offset1:3
	s_waitcnt lgkmcnt(1)
	v_add_u32_e32 v18, v6, v5
	v_add3_u32 v18, v18, v7, v8
	s_waitcnt lgkmcnt(0)
	v_add3_u32 v18, v18, v1, v2
	v_add3_u32 v4, v18, v3, v4
	s_nop 1
	v_mov_b32_dpp v18, v4 row_shr:1 row_mask:0xf bank_mask:0xf
	v_cndmask_b32_e64 v18, v18, 0, s[14:15]
	v_add_u32_e32 v4, v18, v4
	s_nop 1
	v_mov_b32_dpp v18, v4 row_shr:2 row_mask:0xf bank_mask:0xf
	v_cndmask_b32_e64 v18, 0, v18, s[12:13]
	v_add_u32_e32 v4, v4, v18
	;; [unrolled: 4-line block ×4, first 2 shown]
	s_nop 1
	v_mov_b32_dpp v18, v4 row_bcast:15 row_mask:0xf bank_mask:0xf
	v_cndmask_b32_e64 v18, v18, 0, s[6:7]
	v_add_u32_e32 v4, v4, v18
	s_nop 1
	v_mov_b32_dpp v18, v4 row_bcast:31 row_mask:0xf bank_mask:0xf
	v_cndmask_b32_e64 v18, 0, v18, s[4:5]
	v_add_u32_e32 v4, v4, v18
	s_and_saveexec_b64 s[16:17], s[2:3]
; %bb.38:
	v_mov_b32_e32 v18, 0
	ds_write_b32 v18, v4 offset:1184
; %bb.39:
	s_or_b64 exec, exec, s[16:17]
	ds_bpermute_b32 v18, v13, v4
	v_mov_b32_e32 v4, 0
	s_waitcnt lgkmcnt(0)
	; wave barrier
	ds_read_b32 v19, v4 offset:1184
	v_cndmask_b32_e64 v18, v18, 0, s[0:1]
	s_waitcnt lgkmcnt(0)
	v_lshl_add_u32 v18, v19, 16, v18
	v_add_u32_e32 v19, v18, v5
	v_add_u32_e32 v5, v19, v6
	;; [unrolled: 1-line block ×7, first 2 shown]
	ds_write2_b64 v12, v[18:19], v[5:6] offset1:1
	ds_write2_b64 v12, v[7:8], v[1:2] offset0:2 offset1:3
	s_waitcnt lgkmcnt(0)
	; wave barrier
	ds_read_u16 v1, v17
	v_mov_b32_e32 v2, 1
	v_lshlrev_b32_sdwa v2, v2, v16 dst_sel:DWORD dst_unused:UNUSED_PAD src0_sel:DWORD src1_sel:WORD_0
	s_waitcnt lgkmcnt(0)
	; wave barrier
	v_lshl_add_u32 v1, v1, 1, v2
	ds_write_b16 v1, v15
	s_waitcnt lgkmcnt(0)
	; wave barrier
	ds_read_u16 v15, v11
	s_waitcnt lgkmcnt(0)
	; wave barrier
	ds_write_b32 v14, v4
	s_and_saveexec_b64 s[18:19], vcc
	s_cbranch_execz .LBB19_47
; %bb.40:
	s_movk_i32 s16, 0xde
	v_cmp_gt_u32_e64 s[16:17], s16, v0
	ds_write_b32 v14, v4 offset:148
	s_and_b64 exec, exec, s[16:17]
	s_cbranch_execz .LBB19_47
; %bb.41:
	s_movk_i32 s16, 0xb9
	v_mov_b32_e32 v1, 0
	v_cmp_gt_u32_e64 s[16:17], s16, v0
	ds_write_b32 v14, v1 offset:296
	s_and_b64 exec, exec, s[16:17]
	s_cbranch_execz .LBB19_47
; %bb.42:
	s_movk_i32 s16, 0x94
	v_cmp_gt_u32_e64 s[16:17], s16, v0
	ds_write_b32 v14, v1 offset:444
	s_and_b64 exec, exec, s[16:17]
	s_cbranch_execz .LBB19_47
; %bb.43:
	s_movk_i32 s16, 0x6f
	v_mov_b32_e32 v1, 0
	v_cmp_gt_u32_e64 s[16:17], s16, v0
	ds_write_b32 v14, v1 offset:592
	s_and_b64 exec, exec, s[16:17]
	s_cbranch_execz .LBB19_47
; %bb.44:
	s_movk_i32 s16, 0x4a
	v_cmp_gt_u32_e64 s[16:17], s16, v0
	ds_write_b32 v14, v1 offset:740
	s_and_b64 exec, exec, s[16:17]
	s_cbranch_execz .LBB19_47
; %bb.45:
	v_mov_b32_e32 v1, 0
	v_cmp_gt_u32_e64 s[16:17], 37, v0
	ds_write_b32 v14, v1 offset:888
	s_and_b64 exec, exec, s[16:17]
; %bb.46:
	ds_write_b32 v14, v1 offset:1036
.LBB19_47:
	s_or_b64 exec, exec, s[18:19]
	v_mov_b32_e32 v1, 15
	s_movk_i32 s16, 0x7fff
	v_and_b32_sdwa v1, v15, v1 dst_sel:DWORD dst_unused:UNUSED_PAD src0_sel:BYTE_1 src1_sel:DWORD
	v_cmp_ne_u16_e64 s[16:17], s16, v15
	v_cndmask_b32_e64 v1, 0, v1, s[16:17]
	v_mov_b32_e32 v2, 7
	v_mov_b32_e32 v3, 2
	v_and_b32_sdwa v2, v1, v2 dst_sel:DWORD dst_unused:UNUSED_PAD src0_sel:WORD_0 src1_sel:DWORD
	v_lshrrev_b32_sdwa v1, v3, v1 dst_sel:DWORD dst_unused:UNUSED_PAD src0_sel:DWORD src1_sel:WORD_0
	v_mad_u32_u24 v2, v2, 37, v0
	v_and_b32_e32 v1, 2, v1
	v_lshl_or_b32 v17, v2, 2, v1
	ds_read_u16 v16, v17
	s_waitcnt lgkmcnt(0)
	v_add_u16_e32 v1, 1, v16
	ds_write_b16 v17, v1
	s_waitcnt lgkmcnt(0)
	; wave barrier
	ds_read2_b64 v[5:8], v12 offset1:1
	ds_read2_b64 v[1:4], v12 offset0:2 offset1:3
	s_waitcnt lgkmcnt(1)
	v_add_u32_e32 v18, v6, v5
	v_add3_u32 v18, v18, v7, v8
	s_waitcnt lgkmcnt(0)
	v_add3_u32 v18, v18, v1, v2
	v_add3_u32 v4, v18, v3, v4
	s_nop 1
	v_mov_b32_dpp v18, v4 row_shr:1 row_mask:0xf bank_mask:0xf
	v_cndmask_b32_e64 v18, v18, 0, s[14:15]
	v_add_u32_e32 v4, v18, v4
	s_nop 1
	v_mov_b32_dpp v18, v4 row_shr:2 row_mask:0xf bank_mask:0xf
	v_cndmask_b32_e64 v18, 0, v18, s[12:13]
	v_add_u32_e32 v4, v4, v18
	;; [unrolled: 4-line block ×4, first 2 shown]
	s_nop 1
	v_mov_b32_dpp v18, v4 row_bcast:15 row_mask:0xf bank_mask:0xf
	v_cndmask_b32_e64 v18, v18, 0, s[6:7]
	v_add_u32_e32 v4, v4, v18
	s_nop 1
	v_mov_b32_dpp v18, v4 row_bcast:31 row_mask:0xf bank_mask:0xf
	v_cndmask_b32_e64 v18, 0, v18, s[4:5]
	v_add_u32_e32 v4, v4, v18
	s_and_saveexec_b64 s[16:17], s[2:3]
; %bb.48:
	v_mov_b32_e32 v18, 0
	ds_write_b32 v18, v4 offset:1184
; %bb.49:
	s_or_b64 exec, exec, s[16:17]
	ds_bpermute_b32 v18, v13, v4
	v_mov_b32_e32 v4, 0
	s_waitcnt lgkmcnt(0)
	; wave barrier
	ds_read_b32 v19, v4 offset:1184
	v_cndmask_b32_e64 v18, v18, 0, s[0:1]
	s_waitcnt lgkmcnt(0)
	v_lshl_add_u32 v18, v19, 16, v18
	v_add_u32_e32 v19, v18, v5
	v_add_u32_e32 v5, v19, v6
	;; [unrolled: 1-line block ×7, first 2 shown]
	ds_write2_b64 v12, v[18:19], v[5:6] offset1:1
	ds_write2_b64 v12, v[7:8], v[1:2] offset0:2 offset1:3
	s_waitcnt lgkmcnt(0)
	; wave barrier
	ds_read_u16 v1, v17
	v_mov_b32_e32 v2, 1
	v_lshlrev_b32_sdwa v2, v2, v16 dst_sel:DWORD dst_unused:UNUSED_PAD src0_sel:DWORD src1_sel:WORD_0
	s_waitcnt lgkmcnt(0)
	; wave barrier
	v_lshl_add_u32 v1, v1, 1, v2
	ds_write_b16 v1, v15
	s_waitcnt lgkmcnt(0)
	; wave barrier
	ds_read_u16 v8, v11
	s_waitcnt lgkmcnt(0)
	; wave barrier
	ds_write_b32 v14, v4
	s_and_saveexec_b64 s[16:17], vcc
	s_cbranch_execz .LBB19_57
; %bb.50:
	s_movk_i32 s18, 0xde
	v_cmp_gt_u32_e32 vcc, s18, v0
	ds_write_b32 v14, v4 offset:148
	s_and_b64 exec, exec, vcc
	s_cbranch_execz .LBB19_57
; %bb.51:
	s_movk_i32 s18, 0xb9
	v_mov_b32_e32 v1, 0
	v_cmp_gt_u32_e32 vcc, s18, v0
	ds_write_b32 v14, v1 offset:296
	s_and_b64 exec, exec, vcc
	s_cbranch_execz .LBB19_57
; %bb.52:
	s_movk_i32 s18, 0x94
	v_cmp_gt_u32_e32 vcc, s18, v0
	ds_write_b32 v14, v1 offset:444
	s_and_b64 exec, exec, vcc
	s_cbranch_execz .LBB19_57
; %bb.53:
	s_movk_i32 s18, 0x6f
	v_mov_b32_e32 v1, 0
	v_cmp_gt_u32_e32 vcc, s18, v0
	ds_write_b32 v14, v1 offset:592
	s_and_b64 exec, exec, vcc
	s_cbranch_execz .LBB19_57
; %bb.54:
	s_movk_i32 s18, 0x4a
	v_cmp_gt_u32_e32 vcc, s18, v0
	ds_write_b32 v14, v1 offset:740
	s_and_b64 exec, exec, vcc
	s_cbranch_execz .LBB19_57
; %bb.55:
	v_mov_b32_e32 v1, 0
	v_cmp_gt_u32_e32 vcc, 37, v0
	ds_write_b32 v14, v1 offset:888
	s_and_b64 exec, exec, vcc
; %bb.56:
	ds_write_b32 v14, v1 offset:1036
.LBB19_57:
	s_or_b64 exec, exec, s[16:17]
	s_movk_i32 s16, 0x7fff
	v_lshrrev_b16_e32 v1, 12, v8
	v_cmp_ne_u16_e32 vcc, s16, v8
	v_cndmask_b32_e32 v1, 8, v1, vcc
	v_mov_b32_e32 v2, 7
	v_and_b32_sdwa v2, v1, v2 dst_sel:DWORD dst_unused:UNUSED_PAD src0_sel:WORD_0 src1_sel:DWORD
	v_mad_u32_u24 v0, v2, 37, v0
	v_mov_b32_e32 v2, 2
	v_lshrrev_b32_sdwa v1, v2, v1 dst_sel:DWORD dst_unused:UNUSED_PAD src0_sel:DWORD src1_sel:WORD_0
	v_and_b32_e32 v1, 2, v1
	v_lshl_or_b32 v15, v0, 2, v1
	ds_read_u16 v14, v15
	s_waitcnt lgkmcnt(0)
	v_add_u16_e32 v0, 1, v14
	ds_write_b16 v15, v0
	s_waitcnt lgkmcnt(0)
	; wave barrier
	ds_read2_b64 v[4:7], v12 offset1:1
	ds_read2_b64 v[0:3], v12 offset0:2 offset1:3
	s_waitcnt lgkmcnt(1)
	v_add_u32_e32 v16, v5, v4
	v_add3_u32 v16, v16, v6, v7
	s_waitcnt lgkmcnt(0)
	v_add3_u32 v16, v16, v0, v1
	v_add3_u32 v3, v16, v2, v3
	s_nop 1
	v_mov_b32_dpp v16, v3 row_shr:1 row_mask:0xf bank_mask:0xf
	v_cndmask_b32_e64 v16, v16, 0, s[14:15]
	v_add_u32_e32 v3, v16, v3
	s_nop 1
	v_mov_b32_dpp v16, v3 row_shr:2 row_mask:0xf bank_mask:0xf
	v_cndmask_b32_e64 v16, 0, v16, s[12:13]
	v_add_u32_e32 v3, v3, v16
	;; [unrolled: 4-line block ×4, first 2 shown]
	s_nop 1
	v_mov_b32_dpp v16, v3 row_bcast:15 row_mask:0xf bank_mask:0xf
	v_cndmask_b32_e64 v16, v16, 0, s[6:7]
	v_add_u32_e32 v3, v3, v16
	s_nop 1
	v_mov_b32_dpp v16, v3 row_bcast:31 row_mask:0xf bank_mask:0xf
	v_cndmask_b32_e64 v16, 0, v16, s[4:5]
	v_add_u32_e32 v3, v3, v16
	s_and_saveexec_b64 s[4:5], s[2:3]
; %bb.58:
	v_mov_b32_e32 v16, 0
	ds_write_b32 v16, v3 offset:1184
; %bb.59:
	s_or_b64 exec, exec, s[4:5]
	ds_bpermute_b32 v3, v13, v3
	v_mov_b32_e32 v13, 0
	s_waitcnt lgkmcnt(0)
	; wave barrier
	ds_read_b32 v13, v13 offset:1184
	v_cndmask_b32_e64 v3, v3, 0, s[0:1]
	s_waitcnt lgkmcnt(0)
	v_lshl_add_u32 v3, v13, 16, v3
	v_add_u32_e32 v4, v3, v4
	v_add_u32_e32 v5, v4, v5
	;; [unrolled: 1-line block ×7, first 2 shown]
	ds_write2_b64 v12, v[3:4], v[5:6] offset1:1
	ds_write2_b64 v12, v[16:17], v[0:1] offset0:2 offset1:3
	s_waitcnt lgkmcnt(0)
	; wave barrier
	ds_read_u16 v0, v15
	v_mov_b32_e32 v1, 1
	v_lshlrev_b32_sdwa v1, v1, v14 dst_sel:DWORD dst_unused:UNUSED_PAD src0_sel:DWORD src1_sel:WORD_0
	s_waitcnt lgkmcnt(0)
	; wave barrier
	v_lshl_add_u32 v0, v0, 1, v1
	ds_write_b16 v0, v8
	s_waitcnt lgkmcnt(0)
	; wave barrier
.LBB19_60:
	ds_read_u16 v0, v11
	v_mov_b32_e32 v1, 0xffff8000
	s_waitcnt lgkmcnt(0)
	v_cmp_lt_i16_e32 vcc, -1, v0
	v_cndmask_b32_e64 v1, v1, -1, vcc
	v_xor_b32_e32 v0, v1, v0
	global_store_short v[9:10], v0, off
	s_endpgm
	.section	.rodata,"a",@progbits
	.p2align	6, 0x0
	.amdhsa_kernel _Z15sort_key_kernelILj37ELj1ELb0ELb0E12hip_bfloat16EvPT3_jj
		.amdhsa_group_segment_fixed_size 1200
		.amdhsa_private_segment_fixed_size 0
		.amdhsa_kernarg_size 16
		.amdhsa_user_sgpr_count 6
		.amdhsa_user_sgpr_private_segment_buffer 1
		.amdhsa_user_sgpr_dispatch_ptr 0
		.amdhsa_user_sgpr_queue_ptr 0
		.amdhsa_user_sgpr_kernarg_segment_ptr 1
		.amdhsa_user_sgpr_dispatch_id 0
		.amdhsa_user_sgpr_flat_scratch_init 0
		.amdhsa_user_sgpr_private_segment_size 0
		.amdhsa_uses_dynamic_stack 0
		.amdhsa_system_sgpr_private_segment_wavefront_offset 0
		.amdhsa_system_sgpr_workgroup_id_x 1
		.amdhsa_system_sgpr_workgroup_id_y 0
		.amdhsa_system_sgpr_workgroup_id_z 0
		.amdhsa_system_sgpr_workgroup_info 0
		.amdhsa_system_vgpr_workitem_id 0
		.amdhsa_next_free_vgpr 24
		.amdhsa_next_free_sgpr 40
		.amdhsa_reserve_vcc 1
		.amdhsa_reserve_flat_scratch 0
		.amdhsa_float_round_mode_32 0
		.amdhsa_float_round_mode_16_64 0
		.amdhsa_float_denorm_mode_32 3
		.amdhsa_float_denorm_mode_16_64 3
		.amdhsa_dx10_clamp 1
		.amdhsa_ieee_mode 1
		.amdhsa_fp16_overflow 0
		.amdhsa_exception_fp_ieee_invalid_op 0
		.amdhsa_exception_fp_denorm_src 0
		.amdhsa_exception_fp_ieee_div_zero 0
		.amdhsa_exception_fp_ieee_overflow 0
		.amdhsa_exception_fp_ieee_underflow 0
		.amdhsa_exception_fp_ieee_inexact 0
		.amdhsa_exception_int_div_zero 0
	.end_amdhsa_kernel
	.section	.text._Z15sort_key_kernelILj37ELj1ELb0ELb0E12hip_bfloat16EvPT3_jj,"axG",@progbits,_Z15sort_key_kernelILj37ELj1ELb0ELb0E12hip_bfloat16EvPT3_jj,comdat
.Lfunc_end19:
	.size	_Z15sort_key_kernelILj37ELj1ELb0ELb0E12hip_bfloat16EvPT3_jj, .Lfunc_end19-_Z15sort_key_kernelILj37ELj1ELb0ELb0E12hip_bfloat16EvPT3_jj
                                        ; -- End function
	.set _Z15sort_key_kernelILj37ELj1ELb0ELb0E12hip_bfloat16EvPT3_jj.num_vgpr, 24
	.set _Z15sort_key_kernelILj37ELj1ELb0ELb0E12hip_bfloat16EvPT3_jj.num_agpr, 0
	.set _Z15sort_key_kernelILj37ELj1ELb0ELb0E12hip_bfloat16EvPT3_jj.numbered_sgpr, 40
	.set _Z15sort_key_kernelILj37ELj1ELb0ELb0E12hip_bfloat16EvPT3_jj.num_named_barrier, 0
	.set _Z15sort_key_kernelILj37ELj1ELb0ELb0E12hip_bfloat16EvPT3_jj.private_seg_size, 0
	.set _Z15sort_key_kernelILj37ELj1ELb0ELb0E12hip_bfloat16EvPT3_jj.uses_vcc, 1
	.set _Z15sort_key_kernelILj37ELj1ELb0ELb0E12hip_bfloat16EvPT3_jj.uses_flat_scratch, 0
	.set _Z15sort_key_kernelILj37ELj1ELb0ELb0E12hip_bfloat16EvPT3_jj.has_dyn_sized_stack, 0
	.set _Z15sort_key_kernelILj37ELj1ELb0ELb0E12hip_bfloat16EvPT3_jj.has_recursion, 0
	.set _Z15sort_key_kernelILj37ELj1ELb0ELb0E12hip_bfloat16EvPT3_jj.has_indirect_call, 0
	.section	.AMDGPU.csdata,"",@progbits
; Kernel info:
; codeLenInByte = 3644
; TotalNumSgprs: 44
; NumVgprs: 24
; ScratchSize: 0
; MemoryBound: 0
; FloatMode: 240
; IeeeMode: 1
; LDSByteSize: 1200 bytes/workgroup (compile time only)
; SGPRBlocks: 5
; VGPRBlocks: 5
; NumSGPRsForWavesPerEU: 44
; NumVGPRsForWavesPerEU: 24
; Occupancy: 10
; WaveLimiterHint : 0
; COMPUTE_PGM_RSRC2:SCRATCH_EN: 0
; COMPUTE_PGM_RSRC2:USER_SGPR: 6
; COMPUTE_PGM_RSRC2:TRAP_HANDLER: 0
; COMPUTE_PGM_RSRC2:TGID_X_EN: 1
; COMPUTE_PGM_RSRC2:TGID_Y_EN: 0
; COMPUTE_PGM_RSRC2:TGID_Z_EN: 0
; COMPUTE_PGM_RSRC2:TIDIG_COMP_CNT: 0
	.section	.text._Z15sort_key_kernelILj37ELj1ELb0ELb0EfEvPT3_jj,"axG",@progbits,_Z15sort_key_kernelILj37ELj1ELb0ELb0EfEvPT3_jj,comdat
	.protected	_Z15sort_key_kernelILj37ELj1ELb0ELb0EfEvPT3_jj ; -- Begin function _Z15sort_key_kernelILj37ELj1ELb0ELb0EfEvPT3_jj
	.globl	_Z15sort_key_kernelILj37ELj1ELb0ELb0EfEvPT3_jj
	.p2align	8
	.type	_Z15sort_key_kernelILj37ELj1ELb0ELb0EfEvPT3_jj,@function
_Z15sort_key_kernelILj37ELj1ELb0ELb0EfEvPT3_jj: ; @_Z15sort_key_kernelILj37ELj1ELb0ELb0EfEvPT3_jj
; %bb.0:
	s_load_dwordx4 s[36:39], s[4:5], 0x0
	s_mul_i32 s0, s6, 37
	s_mov_b32 s1, 0
	s_lshl_b64 s[0:1], s[0:1], 2
	v_lshlrev_b32_e32 v14, 2, v0
	s_waitcnt lgkmcnt(0)
	s_add_u32 s18, s36, s0
	s_addc_u32 s19, s37, s1
	global_load_dword v1, v14, s[18:19]
	v_mbcnt_lo_u32_b32 v2, -1, 0
	s_movk_i32 s0, 0x128
	v_mbcnt_hi_u32_b32 v2, -1, v2
	v_cmp_gt_u32_e64 s[16:17], s0, v0
	v_subrev_co_u32_e64 v5, s[0:1], 1, v2
	v_and_b32_e32 v6, 64, v2
	v_cmp_lt_i32_e32 vcc, v5, v6
	v_and_b32_e32 v3, 15, v2
	v_and_b32_e32 v4, 16, v2
	v_cmp_lt_u32_e64 s[4:5], 31, v2
	v_cndmask_b32_e32 v2, v5, v2, vcc
	s_cmp_eq_u32 s38, 0
	v_lshlrev_b32_e32 v13, 2, v2
	v_mov_b32_e32 v2, s19
	v_add_co_u32_e32 v9, vcc, s18, v14
	s_cselect_b64 s[18:19], -1, 0
	s_cmp_eq_u32 s39, 32
	s_cselect_b64 s[22:23], -1, 0
	v_addc_co_u32_e32 v10, vcc, 0, v2, vcc
	s_and_b64 s[18:19], s[18:19], s[22:23]
	v_bfrev_b32_e32 v17, 1
	s_and_b64 vcc, exec, s[18:19]
	v_mov_b32_e32 v16, 0
	s_mov_b64 s[20:21], -1
	v_lshlrev_b32_e32 v11, 5, v0
	v_cmp_eq_u32_e64 s[2:3], 36, v0
	v_mul_i32_i24_e32 v12, 0xffffffe4, v0
	v_cmp_eq_u32_e64 s[14:15], 0, v3
	v_cmp_lt_u32_e64 s[12:13], 1, v3
	v_cmp_lt_u32_e64 s[10:11], 3, v3
	;; [unrolled: 1-line block ×3, first 2 shown]
	v_cmp_eq_u32_e64 s[6:7], 0, v4
	s_waitcnt vmcnt(0)
	v_cmp_lt_i32_e64 s[18:19], -1, v1
	v_cndmask_b32_e64 v2, -1, v17, s[18:19]
	v_xor_b32_e32 v15, v2, v1
	s_cbranch_vccnz .LBB20_17
; %bb.1:
	s_movk_i32 s18, 0x103
	s_movk_i32 s20, 0xde
	;; [unrolled: 1-line block ×6, first 2 shown]
	s_sub_i32 s33, s39, s38
	v_cmp_gt_u32_e64 s[18:19], s18, v0
	v_cmp_gt_u32_e64 s[20:21], s20, v0
	v_cmp_gt_u32_e64 s[22:23], s22, v0
	v_cmp_gt_u32_e64 s[24:25], s24, v0
	v_cmp_gt_u32_e64 s[26:27], s26, v0
	v_cmp_gt_u32_e64 s[28:29], s28, v0
	v_cmp_gt_u32_e64 s[30:31], 37, v0
	v_mov_b32_e32 v18, s33
	s_brev_b32 s33, -2
	v_mov_b32_e32 v2, v15
	s_branch .LBB20_3
.LBB20_2:                               ;   in Loop: Header=BB20_3 Depth=1
	s_andn2_b64 vcc, exec, s[34:35]
	s_cbranch_vccz .LBB20_16
.LBB20_3:                               ; =>This Inner Loop Header: Depth=1
	v_mov_b32_e32 v19, v2
	s_and_saveexec_b64 s[34:35], s[16:17]
	s_cbranch_execz .LBB20_12
; %bb.4:                                ;   in Loop: Header=BB20_3 Depth=1
	ds_write_b32 v14, v16
	s_and_b64 exec, exec, s[18:19]
	s_cbranch_execz .LBB20_12
; %bb.5:                                ;   in Loop: Header=BB20_3 Depth=1
	ds_write_b32 v14, v16 offset:148
	s_and_b64 exec, exec, s[20:21]
	s_cbranch_execz .LBB20_12
; %bb.6:                                ;   in Loop: Header=BB20_3 Depth=1
	ds_write_b32 v14, v16 offset:296
	;; [unrolled: 4-line block ×5, first 2 shown]
	s_and_b64 exec, exec, s[28:29]
	s_cbranch_execz .LBB20_12
; %bb.10:                               ;   in Loop: Header=BB20_3 Depth=1
	ds_write_b32 v14, v16 offset:888
	s_and_b64 exec, exec, s[30:31]
; %bb.11:                               ;   in Loop: Header=BB20_3 Depth=1
	ds_write_b32 v14, v16 offset:1036
.LBB20_12:                              ;   in Loop: Header=BB20_3 Depth=1
	s_or_b64 exec, exec, s[34:35]
	v_cmp_ne_u32_e32 vcc, s33, v19
	v_cndmask_b32_e32 v2, v17, v19, vcc
	v_min_u32_e32 v1, 4, v18
	v_lshrrev_b32_e32 v2, s38, v2
	v_bfe_u32 v1, v2, 0, v1
	v_and_b32_e32 v2, 7, v1
	v_lshrrev_b32_e32 v1, 2, v1
	v_mad_u32_u24 v2, v2, 37, v0
	v_and_b32_e32 v1, 30, v1
	v_lshl_add_u32 v21, v2, 2, v1
	ds_read_u16 v20, v21
	s_waitcnt lgkmcnt(0)
	v_add_u16_e32 v1, 1, v20
	ds_write_b16 v21, v1
	s_waitcnt lgkmcnt(0)
	; wave barrier
	ds_read2_b64 v[5:8], v11 offset1:1
	ds_read2_b64 v[1:4], v11 offset0:2 offset1:3
	s_waitcnt lgkmcnt(1)
	v_add_u32_e32 v22, v6, v5
	v_add3_u32 v22, v22, v7, v8
	s_waitcnt lgkmcnt(0)
	v_add3_u32 v22, v22, v1, v2
	v_add3_u32 v4, v22, v3, v4
	s_nop 1
	v_mov_b32_dpp v22, v4 row_shr:1 row_mask:0xf bank_mask:0xf
	v_cndmask_b32_e64 v22, v22, 0, s[14:15]
	v_add_u32_e32 v4, v22, v4
	s_nop 1
	v_mov_b32_dpp v22, v4 row_shr:2 row_mask:0xf bank_mask:0xf
	v_cndmask_b32_e64 v22, 0, v22, s[12:13]
	v_add_u32_e32 v4, v4, v22
	;; [unrolled: 4-line block ×4, first 2 shown]
	s_nop 1
	v_mov_b32_dpp v22, v4 row_bcast:15 row_mask:0xf bank_mask:0xf
	v_cndmask_b32_e64 v22, v22, 0, s[6:7]
	v_add_u32_e32 v4, v4, v22
	s_nop 1
	v_mov_b32_dpp v22, v4 row_bcast:31 row_mask:0xf bank_mask:0xf
	v_cndmask_b32_e64 v22, 0, v22, s[4:5]
	v_add_u32_e32 v4, v4, v22
	s_and_saveexec_b64 s[34:35], s[2:3]
; %bb.13:                               ;   in Loop: Header=BB20_3 Depth=1
	ds_write_b32 v16, v4 offset:1184
; %bb.14:                               ;   in Loop: Header=BB20_3 Depth=1
	s_or_b64 exec, exec, s[34:35]
	ds_bpermute_b32 v4, v13, v4
	s_waitcnt lgkmcnt(0)
	; wave barrier
	ds_read_b32 v22, v16 offset:1184
	s_add_i32 s38, s38, 4
	v_cndmask_b32_e64 v4, v4, 0, s[0:1]
	s_cmp_ge_u32 s38, s39
	s_mov_b64 s[34:35], -1
	s_waitcnt lgkmcnt(0)
	v_lshl_add_u32 v4, v22, 16, v4
	v_add_u32_e32 v5, v4, v5
	v_add_u32_e32 v6, v5, v6
	;; [unrolled: 1-line block ×7, first 2 shown]
	ds_write2_b64 v11, v[4:5], v[6:7] offset1:1
	ds_write2_b64 v11, v[22:23], v[1:2] offset0:2 offset1:3
	s_waitcnt lgkmcnt(0)
	; wave barrier
	ds_read_u16 v1, v21
	v_mov_b32_e32 v2, 2
	v_lshlrev_b32_sdwa v2, v2, v20 dst_sel:DWORD dst_unused:UNUSED_PAD src0_sel:DWORD src1_sel:WORD_0
	s_waitcnt lgkmcnt(0)
	v_lshl_add_u32 v1, v1, 2, v2
                                        ; implicit-def: $vgpr2
	s_cbranch_scc1 .LBB20_2
; %bb.15:                               ;   in Loop: Header=BB20_3 Depth=1
	v_add_u32_e32 v2, v11, v12
	; wave barrier
	ds_write_b32 v1, v19
	s_waitcnt lgkmcnt(0)
	; wave barrier
	ds_read_b32 v2, v2
	v_add_u32_e32 v18, -4, v18
	s_mov_b64 s[34:35], 0
	s_waitcnt lgkmcnt(0)
	; wave barrier
	s_branch .LBB20_2
.LBB20_16:
	s_mov_b64 s[20:21], 0
	; wave barrier
	ds_write_b32 v1, v19
	s_waitcnt lgkmcnt(0)
	; wave barrier
.LBB20_17:
	s_and_b64 vcc, exec, s[20:21]
	s_cbranch_vccz .LBB20_107
; %bb.18:
	s_and_saveexec_b64 s[18:19], s[16:17]
	s_cbranch_execz .LBB20_27
; %bb.19:
	s_movk_i32 s20, 0x103
	v_add_u32_e32 v1, v11, v12
	v_mov_b32_e32 v2, 0
	v_cmp_gt_u32_e32 vcc, s20, v0
	ds_write_b32 v1, v2
	s_and_b64 exec, exec, vcc
	s_cbranch_execz .LBB20_27
; %bb.20:
	s_movk_i32 s20, 0xde
	v_cmp_gt_u32_e32 vcc, s20, v0
	ds_write_b32 v1, v2 offset:148
	s_and_b64 exec, exec, vcc
	s_cbranch_execz .LBB20_27
; %bb.21:
	s_movk_i32 s20, 0xb9
	v_mov_b32_e32 v2, 0
	v_cmp_gt_u32_e32 vcc, s20, v0
	ds_write_b32 v1, v2 offset:296
	s_and_b64 exec, exec, vcc
	s_cbranch_execz .LBB20_27
; %bb.22:
	s_movk_i32 s20, 0x94
	v_cmp_gt_u32_e32 vcc, s20, v0
	ds_write_b32 v1, v2 offset:444
	s_and_b64 exec, exec, vcc
	s_cbranch_execz .LBB20_27
; %bb.23:
	s_movk_i32 s20, 0x6f
	v_mov_b32_e32 v2, 0
	v_cmp_gt_u32_e32 vcc, s20, v0
	ds_write_b32 v1, v2 offset:592
	s_and_b64 exec, exec, vcc
	s_cbranch_execz .LBB20_27
; %bb.24:
	s_movk_i32 s20, 0x4a
	v_cmp_gt_u32_e32 vcc, s20, v0
	ds_write_b32 v1, v2 offset:740
	s_and_b64 exec, exec, vcc
	s_cbranch_execz .LBB20_27
; %bb.25:
	v_mov_b32_e32 v2, 0
	v_cmp_gt_u32_e32 vcc, 37, v0
	ds_write_b32 v1, v2 offset:888
	s_and_b64 exec, exec, vcc
; %bb.26:
	ds_write_b32 v1, v2 offset:1036
.LBB20_27:
	s_or_b64 exec, exec, s[18:19]
	s_brev_b32 s18, -2
	v_bfrev_b32_e32 v1, 1
	v_cmp_ne_u32_e32 vcc, s18, v15
	v_cndmask_b32_e32 v1, v1, v15, vcc
	v_and_b32_e32 v2, 7, v1
	v_lshrrev_b32_e32 v1, 2, v1
	v_mad_u32_u24 v2, v2, 37, v0
	v_and_b32_e32 v1, 2, v1
	v_lshl_or_b32 v17, v2, 2, v1
	ds_read_u16 v16, v17
	s_waitcnt lgkmcnt(0)
	v_add_u16_e32 v1, 1, v16
	ds_write_b16 v17, v1
	s_waitcnt lgkmcnt(0)
	; wave barrier
	ds_read2_b64 v[5:8], v11 offset1:1
	ds_read2_b64 v[1:4], v11 offset0:2 offset1:3
	s_waitcnt lgkmcnt(1)
	v_add_u32_e32 v18, v6, v5
	v_add3_u32 v18, v18, v7, v8
	s_waitcnt lgkmcnt(0)
	v_add3_u32 v18, v18, v1, v2
	v_add3_u32 v4, v18, v3, v4
	s_nop 1
	v_mov_b32_dpp v18, v4 row_shr:1 row_mask:0xf bank_mask:0xf
	v_cndmask_b32_e64 v18, v18, 0, s[14:15]
	v_add_u32_e32 v4, v18, v4
	s_nop 1
	v_mov_b32_dpp v18, v4 row_shr:2 row_mask:0xf bank_mask:0xf
	v_cndmask_b32_e64 v18, 0, v18, s[12:13]
	v_add_u32_e32 v4, v4, v18
	s_nop 1
	v_mov_b32_dpp v18, v4 row_shr:4 row_mask:0xf bank_mask:0xf
	v_cndmask_b32_e64 v18, 0, v18, s[10:11]
	v_add_u32_e32 v4, v4, v18
	s_nop 1
	v_mov_b32_dpp v18, v4 row_shr:8 row_mask:0xf bank_mask:0xf
	v_cndmask_b32_e64 v18, 0, v18, s[8:9]
	v_add_u32_e32 v4, v4, v18
	s_nop 1
	v_mov_b32_dpp v18, v4 row_bcast:15 row_mask:0xf bank_mask:0xf
	v_cndmask_b32_e64 v18, v18, 0, s[6:7]
	v_add_u32_e32 v4, v4, v18
	s_nop 1
	v_mov_b32_dpp v18, v4 row_bcast:31 row_mask:0xf bank_mask:0xf
	v_cndmask_b32_e64 v18, 0, v18, s[4:5]
	v_add_u32_e32 v4, v4, v18
	s_and_saveexec_b64 s[18:19], s[2:3]
; %bb.28:
	v_mov_b32_e32 v18, 0
	ds_write_b32 v18, v4 offset:1184
; %bb.29:
	s_or_b64 exec, exec, s[18:19]
	ds_bpermute_b32 v18, v13, v4
	v_mov_b32_e32 v4, 0
	s_waitcnt lgkmcnt(0)
	; wave barrier
	ds_read_b32 v19, v4 offset:1184
	v_cndmask_b32_e64 v18, v18, 0, s[0:1]
	s_waitcnt lgkmcnt(0)
	v_lshl_add_u32 v18, v19, 16, v18
	v_add_u32_e32 v19, v18, v5
	v_add_u32_e32 v5, v19, v6
	;; [unrolled: 1-line block ×7, first 2 shown]
	ds_write2_b64 v11, v[18:19], v[5:6] offset1:1
	ds_write2_b64 v11, v[7:8], v[1:2] offset0:2 offset1:3
	s_waitcnt lgkmcnt(0)
	; wave barrier
	ds_read_u16 v1, v17
	v_mov_b32_e32 v2, 2
	v_lshlrev_b32_sdwa v2, v2, v16 dst_sel:DWORD dst_unused:UNUSED_PAD src0_sel:DWORD src1_sel:WORD_0
	s_waitcnt lgkmcnt(0)
	; wave barrier
	v_lshl_add_u32 v1, v1, 2, v2
	ds_write_b32 v1, v15
	v_add_u32_e32 v15, v11, v12
	s_waitcnt lgkmcnt(0)
	; wave barrier
	ds_read_b32 v16, v15
	s_waitcnt lgkmcnt(0)
	; wave barrier
	s_and_saveexec_b64 s[18:19], s[16:17]
	s_cbranch_execz .LBB20_38
; %bb.30:
	s_movk_i32 s20, 0x103
	v_cmp_gt_u32_e32 vcc, s20, v0
	ds_write_b32 v14, v4
	s_and_b64 exec, exec, vcc
	s_cbranch_execz .LBB20_38
; %bb.31:
	s_movk_i32 s20, 0xde
	v_mov_b32_e32 v1, 0
	v_cmp_gt_u32_e32 vcc, s20, v0
	ds_write_b32 v14, v1 offset:148
	s_and_b64 exec, exec, vcc
	s_cbranch_execz .LBB20_38
; %bb.32:
	s_movk_i32 s20, 0xb9
	v_cmp_gt_u32_e32 vcc, s20, v0
	ds_write_b32 v14, v1 offset:296
	s_and_b64 exec, exec, vcc
	s_cbranch_execz .LBB20_38
; %bb.33:
	s_movk_i32 s20, 0x94
	v_mov_b32_e32 v1, 0
	v_cmp_gt_u32_e32 vcc, s20, v0
	ds_write_b32 v14, v1 offset:444
	s_and_b64 exec, exec, vcc
	s_cbranch_execz .LBB20_38
; %bb.34:
	s_movk_i32 s20, 0x6f
	v_cmp_gt_u32_e32 vcc, s20, v0
	ds_write_b32 v14, v1 offset:592
	s_and_b64 exec, exec, vcc
	s_cbranch_execz .LBB20_38
; %bb.35:
	s_movk_i32 s20, 0x4a
	v_mov_b32_e32 v1, 0
	v_cmp_gt_u32_e32 vcc, s20, v0
	ds_write_b32 v14, v1 offset:740
	s_and_b64 exec, exec, vcc
	s_cbranch_execz .LBB20_38
; %bb.36:
	v_cmp_gt_u32_e32 vcc, 37, v0
	ds_write_b32 v14, v1 offset:888
	s_and_b64 exec, exec, vcc
; %bb.37:
	v_mov_b32_e32 v1, 0
	ds_write_b32 v14, v1 offset:1036
.LBB20_38:
	s_or_b64 exec, exec, s[18:19]
	s_brev_b32 s18, -2
	v_lshrrev_b32_e32 v1, 4, v16
	v_bfrev_b32_e32 v2, 16
	v_cmp_ne_u32_e32 vcc, s18, v16
	v_cndmask_b32_e32 v1, v2, v1, vcc
	v_and_b32_e32 v2, 7, v1
	v_lshrrev_b32_e32 v1, 2, v1
	v_mad_u32_u24 v2, v2, 37, v0
	v_and_b32_e32 v1, 2, v1
	v_lshl_or_b32 v18, v2, 2, v1
	ds_read_u16 v17, v18
	s_waitcnt lgkmcnt(0)
	v_add_u16_e32 v1, 1, v17
	ds_write_b16 v18, v1
	s_waitcnt lgkmcnt(0)
	; wave barrier
	ds_read2_b64 v[5:8], v11 offset1:1
	ds_read2_b64 v[1:4], v11 offset0:2 offset1:3
	s_waitcnt lgkmcnt(1)
	v_add_u32_e32 v19, v6, v5
	v_add3_u32 v19, v19, v7, v8
	s_waitcnt lgkmcnt(0)
	v_add3_u32 v19, v19, v1, v2
	v_add3_u32 v4, v19, v3, v4
	s_nop 1
	v_mov_b32_dpp v19, v4 row_shr:1 row_mask:0xf bank_mask:0xf
	v_cndmask_b32_e64 v19, v19, 0, s[14:15]
	v_add_u32_e32 v4, v19, v4
	s_nop 1
	v_mov_b32_dpp v19, v4 row_shr:2 row_mask:0xf bank_mask:0xf
	v_cndmask_b32_e64 v19, 0, v19, s[12:13]
	v_add_u32_e32 v4, v4, v19
	;; [unrolled: 4-line block ×4, first 2 shown]
	s_nop 1
	v_mov_b32_dpp v19, v4 row_bcast:15 row_mask:0xf bank_mask:0xf
	v_cndmask_b32_e64 v19, v19, 0, s[6:7]
	v_add_u32_e32 v4, v4, v19
	s_nop 1
	v_mov_b32_dpp v19, v4 row_bcast:31 row_mask:0xf bank_mask:0xf
	v_cndmask_b32_e64 v19, 0, v19, s[4:5]
	v_add_u32_e32 v4, v4, v19
	s_and_saveexec_b64 s[18:19], s[2:3]
; %bb.39:
	v_mov_b32_e32 v19, 0
	ds_write_b32 v19, v4 offset:1184
; %bb.40:
	s_or_b64 exec, exec, s[18:19]
	ds_bpermute_b32 v19, v13, v4
	v_mov_b32_e32 v4, 0
	s_waitcnt lgkmcnt(0)
	; wave barrier
	ds_read_b32 v20, v4 offset:1184
	v_cndmask_b32_e64 v19, v19, 0, s[0:1]
	s_waitcnt lgkmcnt(0)
	v_lshl_add_u32 v19, v20, 16, v19
	v_add_u32_e32 v20, v19, v5
	v_add_u32_e32 v5, v20, v6
	;; [unrolled: 1-line block ×7, first 2 shown]
	ds_write2_b64 v11, v[19:20], v[5:6] offset1:1
	ds_write2_b64 v11, v[7:8], v[1:2] offset0:2 offset1:3
	s_waitcnt lgkmcnt(0)
	; wave barrier
	ds_read_u16 v1, v18
	v_mov_b32_e32 v2, 2
	v_lshlrev_b32_sdwa v2, v2, v17 dst_sel:DWORD dst_unused:UNUSED_PAD src0_sel:DWORD src1_sel:WORD_0
	s_waitcnt lgkmcnt(0)
	; wave barrier
	v_lshl_add_u32 v1, v1, 2, v2
	ds_write_b32 v1, v16
	s_waitcnt lgkmcnt(0)
	; wave barrier
	ds_read_b32 v16, v15
	s_waitcnt lgkmcnt(0)
	; wave barrier
	s_and_saveexec_b64 s[18:19], s[16:17]
	s_cbranch_execz .LBB20_49
; %bb.41:
	s_movk_i32 s20, 0x103
	v_cmp_gt_u32_e32 vcc, s20, v0
	ds_write_b32 v14, v4
	s_and_b64 exec, exec, vcc
	s_cbranch_execz .LBB20_49
; %bb.42:
	s_movk_i32 s20, 0xde
	v_mov_b32_e32 v1, 0
	v_cmp_gt_u32_e32 vcc, s20, v0
	ds_write_b32 v14, v1 offset:148
	s_and_b64 exec, exec, vcc
	s_cbranch_execz .LBB20_49
; %bb.43:
	s_movk_i32 s20, 0xb9
	v_cmp_gt_u32_e32 vcc, s20, v0
	ds_write_b32 v14, v1 offset:296
	s_and_b64 exec, exec, vcc
	s_cbranch_execz .LBB20_49
; %bb.44:
	s_movk_i32 s20, 0x94
	v_mov_b32_e32 v1, 0
	v_cmp_gt_u32_e32 vcc, s20, v0
	ds_write_b32 v14, v1 offset:444
	s_and_b64 exec, exec, vcc
	s_cbranch_execz .LBB20_49
; %bb.45:
	s_movk_i32 s20, 0x6f
	v_cmp_gt_u32_e32 vcc, s20, v0
	ds_write_b32 v14, v1 offset:592
	s_and_b64 exec, exec, vcc
	s_cbranch_execz .LBB20_49
; %bb.46:
	s_movk_i32 s20, 0x4a
	v_mov_b32_e32 v1, 0
	v_cmp_gt_u32_e32 vcc, s20, v0
	ds_write_b32 v14, v1 offset:740
	s_and_b64 exec, exec, vcc
	s_cbranch_execz .LBB20_49
; %bb.47:
	v_cmp_gt_u32_e32 vcc, 37, v0
	ds_write_b32 v14, v1 offset:888
	s_and_b64 exec, exec, vcc
; %bb.48:
	v_mov_b32_e32 v1, 0
	ds_write_b32 v14, v1 offset:1036
.LBB20_49:
	s_or_b64 exec, exec, s[18:19]
	s_brev_b32 s18, -2
	v_lshrrev_b32_e32 v1, 8, v16
	v_mov_b32_e32 v2, 0x800000
	v_cmp_ne_u32_e32 vcc, s18, v16
	v_cndmask_b32_e32 v1, v2, v1, vcc
	v_and_b32_e32 v2, 7, v1
	v_lshrrev_b32_e32 v1, 2, v1
	v_mad_u32_u24 v2, v2, 37, v0
	v_and_b32_e32 v1, 2, v1
	v_lshl_or_b32 v18, v2, 2, v1
	ds_read_u16 v17, v18
	s_waitcnt lgkmcnt(0)
	v_add_u16_e32 v1, 1, v17
	ds_write_b16 v18, v1
	s_waitcnt lgkmcnt(0)
	; wave barrier
	ds_read2_b64 v[5:8], v11 offset1:1
	ds_read2_b64 v[1:4], v11 offset0:2 offset1:3
	s_waitcnt lgkmcnt(1)
	v_add_u32_e32 v19, v6, v5
	v_add3_u32 v19, v19, v7, v8
	s_waitcnt lgkmcnt(0)
	v_add3_u32 v19, v19, v1, v2
	v_add3_u32 v4, v19, v3, v4
	s_nop 1
	v_mov_b32_dpp v19, v4 row_shr:1 row_mask:0xf bank_mask:0xf
	v_cndmask_b32_e64 v19, v19, 0, s[14:15]
	v_add_u32_e32 v4, v19, v4
	s_nop 1
	v_mov_b32_dpp v19, v4 row_shr:2 row_mask:0xf bank_mask:0xf
	v_cndmask_b32_e64 v19, 0, v19, s[12:13]
	v_add_u32_e32 v4, v4, v19
	;; [unrolled: 4-line block ×4, first 2 shown]
	s_nop 1
	v_mov_b32_dpp v19, v4 row_bcast:15 row_mask:0xf bank_mask:0xf
	v_cndmask_b32_e64 v19, v19, 0, s[6:7]
	v_add_u32_e32 v4, v4, v19
	s_nop 1
	v_mov_b32_dpp v19, v4 row_bcast:31 row_mask:0xf bank_mask:0xf
	v_cndmask_b32_e64 v19, 0, v19, s[4:5]
	v_add_u32_e32 v4, v4, v19
	s_and_saveexec_b64 s[18:19], s[2:3]
; %bb.50:
	v_mov_b32_e32 v19, 0
	ds_write_b32 v19, v4 offset:1184
; %bb.51:
	s_or_b64 exec, exec, s[18:19]
	ds_bpermute_b32 v19, v13, v4
	v_mov_b32_e32 v4, 0
	s_waitcnt lgkmcnt(0)
	; wave barrier
	ds_read_b32 v20, v4 offset:1184
	v_cndmask_b32_e64 v19, v19, 0, s[0:1]
	s_waitcnt lgkmcnt(0)
	v_lshl_add_u32 v19, v20, 16, v19
	v_add_u32_e32 v20, v19, v5
	v_add_u32_e32 v5, v20, v6
	;; [unrolled: 1-line block ×7, first 2 shown]
	ds_write2_b64 v11, v[19:20], v[5:6] offset1:1
	ds_write2_b64 v11, v[7:8], v[1:2] offset0:2 offset1:3
	s_waitcnt lgkmcnt(0)
	; wave barrier
	ds_read_u16 v1, v18
	v_mov_b32_e32 v2, 2
	v_lshlrev_b32_sdwa v2, v2, v17 dst_sel:DWORD dst_unused:UNUSED_PAD src0_sel:DWORD src1_sel:WORD_0
	s_waitcnt lgkmcnt(0)
	; wave barrier
	v_lshl_add_u32 v1, v1, 2, v2
	ds_write_b32 v1, v16
	s_waitcnt lgkmcnt(0)
	; wave barrier
	ds_read_b32 v16, v15
	s_waitcnt lgkmcnt(0)
	; wave barrier
	s_and_saveexec_b64 s[18:19], s[16:17]
	s_cbranch_execz .LBB20_60
; %bb.52:
	s_movk_i32 s20, 0x103
	v_cmp_gt_u32_e32 vcc, s20, v0
	ds_write_b32 v14, v4
	s_and_b64 exec, exec, vcc
	s_cbranch_execz .LBB20_60
; %bb.53:
	s_movk_i32 s20, 0xde
	v_mov_b32_e32 v1, 0
	v_cmp_gt_u32_e32 vcc, s20, v0
	ds_write_b32 v14, v1 offset:148
	s_and_b64 exec, exec, vcc
	s_cbranch_execz .LBB20_60
; %bb.54:
	s_movk_i32 s20, 0xb9
	v_cmp_gt_u32_e32 vcc, s20, v0
	ds_write_b32 v14, v1 offset:296
	s_and_b64 exec, exec, vcc
	s_cbranch_execz .LBB20_60
; %bb.55:
	s_movk_i32 s20, 0x94
	v_mov_b32_e32 v1, 0
	v_cmp_gt_u32_e32 vcc, s20, v0
	ds_write_b32 v14, v1 offset:444
	s_and_b64 exec, exec, vcc
	s_cbranch_execz .LBB20_60
; %bb.56:
	s_movk_i32 s20, 0x6f
	v_cmp_gt_u32_e32 vcc, s20, v0
	ds_write_b32 v14, v1 offset:592
	s_and_b64 exec, exec, vcc
	s_cbranch_execz .LBB20_60
; %bb.57:
	s_movk_i32 s20, 0x4a
	v_mov_b32_e32 v1, 0
	v_cmp_gt_u32_e32 vcc, s20, v0
	ds_write_b32 v14, v1 offset:740
	s_and_b64 exec, exec, vcc
	s_cbranch_execz .LBB20_60
; %bb.58:
	v_cmp_gt_u32_e32 vcc, 37, v0
	ds_write_b32 v14, v1 offset:888
	s_and_b64 exec, exec, vcc
; %bb.59:
	v_mov_b32_e32 v1, 0
	ds_write_b32 v14, v1 offset:1036
.LBB20_60:
	s_or_b64 exec, exec, s[18:19]
	s_brev_b32 s18, -2
	v_lshrrev_b32_e32 v1, 12, v16
	v_mov_b32_e32 v2, 0x80000
	v_cmp_ne_u32_e32 vcc, s18, v16
	v_cndmask_b32_e32 v1, v2, v1, vcc
	v_and_b32_e32 v2, 7, v1
	v_lshrrev_b32_e32 v1, 2, v1
	v_mad_u32_u24 v2, v2, 37, v0
	v_and_b32_e32 v1, 2, v1
	v_lshl_or_b32 v18, v2, 2, v1
	ds_read_u16 v17, v18
	s_waitcnt lgkmcnt(0)
	v_add_u16_e32 v1, 1, v17
	ds_write_b16 v18, v1
	s_waitcnt lgkmcnt(0)
	; wave barrier
	ds_read2_b64 v[5:8], v11 offset1:1
	ds_read2_b64 v[1:4], v11 offset0:2 offset1:3
	s_waitcnt lgkmcnt(1)
	v_add_u32_e32 v19, v6, v5
	v_add3_u32 v19, v19, v7, v8
	s_waitcnt lgkmcnt(0)
	v_add3_u32 v19, v19, v1, v2
	v_add3_u32 v4, v19, v3, v4
	s_nop 1
	v_mov_b32_dpp v19, v4 row_shr:1 row_mask:0xf bank_mask:0xf
	v_cndmask_b32_e64 v19, v19, 0, s[14:15]
	v_add_u32_e32 v4, v19, v4
	s_nop 1
	v_mov_b32_dpp v19, v4 row_shr:2 row_mask:0xf bank_mask:0xf
	v_cndmask_b32_e64 v19, 0, v19, s[12:13]
	v_add_u32_e32 v4, v4, v19
	;; [unrolled: 4-line block ×4, first 2 shown]
	s_nop 1
	v_mov_b32_dpp v19, v4 row_bcast:15 row_mask:0xf bank_mask:0xf
	v_cndmask_b32_e64 v19, v19, 0, s[6:7]
	v_add_u32_e32 v4, v4, v19
	s_nop 1
	v_mov_b32_dpp v19, v4 row_bcast:31 row_mask:0xf bank_mask:0xf
	v_cndmask_b32_e64 v19, 0, v19, s[4:5]
	v_add_u32_e32 v4, v4, v19
	s_and_saveexec_b64 s[18:19], s[2:3]
; %bb.61:
	v_mov_b32_e32 v19, 0
	ds_write_b32 v19, v4 offset:1184
; %bb.62:
	s_or_b64 exec, exec, s[18:19]
	ds_bpermute_b32 v19, v13, v4
	v_mov_b32_e32 v4, 0
	s_waitcnt lgkmcnt(0)
	; wave barrier
	ds_read_b32 v20, v4 offset:1184
	v_cndmask_b32_e64 v19, v19, 0, s[0:1]
	s_waitcnt lgkmcnt(0)
	v_lshl_add_u32 v19, v20, 16, v19
	v_add_u32_e32 v20, v19, v5
	v_add_u32_e32 v5, v20, v6
	;; [unrolled: 1-line block ×7, first 2 shown]
	ds_write2_b64 v11, v[19:20], v[5:6] offset1:1
	ds_write2_b64 v11, v[7:8], v[1:2] offset0:2 offset1:3
	s_waitcnt lgkmcnt(0)
	; wave barrier
	ds_read_u16 v1, v18
	v_mov_b32_e32 v2, 2
	v_lshlrev_b32_sdwa v2, v2, v17 dst_sel:DWORD dst_unused:UNUSED_PAD src0_sel:DWORD src1_sel:WORD_0
	s_waitcnt lgkmcnt(0)
	; wave barrier
	v_lshl_add_u32 v1, v1, 2, v2
	ds_write_b32 v1, v16
	s_waitcnt lgkmcnt(0)
	; wave barrier
	ds_read_b32 v16, v15
	s_waitcnt lgkmcnt(0)
	; wave barrier
	s_and_saveexec_b64 s[18:19], s[16:17]
	s_cbranch_execz .LBB20_71
; %bb.63:
	s_movk_i32 s20, 0x103
	v_cmp_gt_u32_e32 vcc, s20, v0
	ds_write_b32 v14, v4
	s_and_b64 exec, exec, vcc
	s_cbranch_execz .LBB20_71
; %bb.64:
	s_movk_i32 s20, 0xde
	v_mov_b32_e32 v1, 0
	v_cmp_gt_u32_e32 vcc, s20, v0
	ds_write_b32 v14, v1 offset:148
	s_and_b64 exec, exec, vcc
	s_cbranch_execz .LBB20_71
; %bb.65:
	s_movk_i32 s20, 0xb9
	v_cmp_gt_u32_e32 vcc, s20, v0
	ds_write_b32 v14, v1 offset:296
	s_and_b64 exec, exec, vcc
	s_cbranch_execz .LBB20_71
; %bb.66:
	s_movk_i32 s20, 0x94
	v_mov_b32_e32 v1, 0
	v_cmp_gt_u32_e32 vcc, s20, v0
	ds_write_b32 v14, v1 offset:444
	s_and_b64 exec, exec, vcc
	s_cbranch_execz .LBB20_71
; %bb.67:
	s_movk_i32 s20, 0x6f
	v_cmp_gt_u32_e32 vcc, s20, v0
	ds_write_b32 v14, v1 offset:592
	s_and_b64 exec, exec, vcc
	s_cbranch_execz .LBB20_71
; %bb.68:
	s_movk_i32 s20, 0x4a
	v_mov_b32_e32 v1, 0
	v_cmp_gt_u32_e32 vcc, s20, v0
	ds_write_b32 v14, v1 offset:740
	s_and_b64 exec, exec, vcc
	s_cbranch_execz .LBB20_71
; %bb.69:
	v_cmp_gt_u32_e32 vcc, 37, v0
	ds_write_b32 v14, v1 offset:888
	s_and_b64 exec, exec, vcc
; %bb.70:
	v_mov_b32_e32 v1, 0
	ds_write_b32 v14, v1 offset:1036
.LBB20_71:
	s_or_b64 exec, exec, s[18:19]
	s_brev_b32 s18, -2
	v_cmp_ne_u32_e32 vcc, s18, v16
	v_mov_b32_e32 v1, 0x8000
	v_cndmask_b32_sdwa v1, v1, v16, vcc dst_sel:DWORD dst_unused:UNUSED_PAD src0_sel:DWORD src1_sel:WORD_1
	v_and_b32_e32 v2, 7, v1
	v_lshrrev_b32_e32 v1, 2, v1
	v_mad_u32_u24 v2, v2, 37, v0
	v_and_b32_e32 v1, 2, v1
	v_lshl_or_b32 v18, v2, 2, v1
	ds_read_u16 v17, v18
	s_waitcnt lgkmcnt(0)
	v_add_u16_e32 v1, 1, v17
	ds_write_b16 v18, v1
	s_waitcnt lgkmcnt(0)
	; wave barrier
	ds_read2_b64 v[5:8], v11 offset1:1
	ds_read2_b64 v[1:4], v11 offset0:2 offset1:3
	s_waitcnt lgkmcnt(1)
	v_add_u32_e32 v19, v6, v5
	v_add3_u32 v19, v19, v7, v8
	s_waitcnt lgkmcnt(0)
	v_add3_u32 v19, v19, v1, v2
	v_add3_u32 v4, v19, v3, v4
	s_nop 1
	v_mov_b32_dpp v19, v4 row_shr:1 row_mask:0xf bank_mask:0xf
	v_cndmask_b32_e64 v19, v19, 0, s[14:15]
	v_add_u32_e32 v4, v19, v4
	s_nop 1
	v_mov_b32_dpp v19, v4 row_shr:2 row_mask:0xf bank_mask:0xf
	v_cndmask_b32_e64 v19, 0, v19, s[12:13]
	v_add_u32_e32 v4, v4, v19
	;; [unrolled: 4-line block ×4, first 2 shown]
	s_nop 1
	v_mov_b32_dpp v19, v4 row_bcast:15 row_mask:0xf bank_mask:0xf
	v_cndmask_b32_e64 v19, v19, 0, s[6:7]
	v_add_u32_e32 v4, v4, v19
	s_nop 1
	v_mov_b32_dpp v19, v4 row_bcast:31 row_mask:0xf bank_mask:0xf
	v_cndmask_b32_e64 v19, 0, v19, s[4:5]
	v_add_u32_e32 v4, v4, v19
	s_and_saveexec_b64 s[18:19], s[2:3]
; %bb.72:
	v_mov_b32_e32 v19, 0
	ds_write_b32 v19, v4 offset:1184
; %bb.73:
	s_or_b64 exec, exec, s[18:19]
	ds_bpermute_b32 v19, v13, v4
	v_mov_b32_e32 v4, 0
	s_waitcnt lgkmcnt(0)
	; wave barrier
	ds_read_b32 v20, v4 offset:1184
	v_cndmask_b32_e64 v19, v19, 0, s[0:1]
	s_waitcnt lgkmcnt(0)
	v_lshl_add_u32 v19, v20, 16, v19
	v_add_u32_e32 v20, v19, v5
	v_add_u32_e32 v5, v20, v6
	;; [unrolled: 1-line block ×7, first 2 shown]
	ds_write2_b64 v11, v[19:20], v[5:6] offset1:1
	ds_write2_b64 v11, v[7:8], v[1:2] offset0:2 offset1:3
	s_waitcnt lgkmcnt(0)
	; wave barrier
	ds_read_u16 v1, v18
	v_mov_b32_e32 v2, 2
	v_lshlrev_b32_sdwa v2, v2, v17 dst_sel:DWORD dst_unused:UNUSED_PAD src0_sel:DWORD src1_sel:WORD_0
	s_waitcnt lgkmcnt(0)
	; wave barrier
	v_lshl_add_u32 v1, v1, 2, v2
	ds_write_b32 v1, v16
	s_waitcnt lgkmcnt(0)
	; wave barrier
	ds_read_b32 v16, v15
	s_waitcnt lgkmcnt(0)
	; wave barrier
	s_and_saveexec_b64 s[18:19], s[16:17]
	s_cbranch_execz .LBB20_82
; %bb.74:
	s_movk_i32 s20, 0x103
	v_cmp_gt_u32_e32 vcc, s20, v0
	ds_write_b32 v14, v4
	s_and_b64 exec, exec, vcc
	s_cbranch_execz .LBB20_82
; %bb.75:
	s_movk_i32 s20, 0xde
	v_mov_b32_e32 v1, 0
	v_cmp_gt_u32_e32 vcc, s20, v0
	ds_write_b32 v14, v1 offset:148
	s_and_b64 exec, exec, vcc
	s_cbranch_execz .LBB20_82
; %bb.76:
	s_movk_i32 s20, 0xb9
	v_cmp_gt_u32_e32 vcc, s20, v0
	ds_write_b32 v14, v1 offset:296
	s_and_b64 exec, exec, vcc
	s_cbranch_execz .LBB20_82
; %bb.77:
	s_movk_i32 s20, 0x94
	v_mov_b32_e32 v1, 0
	v_cmp_gt_u32_e32 vcc, s20, v0
	ds_write_b32 v14, v1 offset:444
	s_and_b64 exec, exec, vcc
	s_cbranch_execz .LBB20_82
; %bb.78:
	s_movk_i32 s20, 0x6f
	v_cmp_gt_u32_e32 vcc, s20, v0
	ds_write_b32 v14, v1 offset:592
	s_and_b64 exec, exec, vcc
	s_cbranch_execz .LBB20_82
; %bb.79:
	s_movk_i32 s20, 0x4a
	v_mov_b32_e32 v1, 0
	v_cmp_gt_u32_e32 vcc, s20, v0
	ds_write_b32 v14, v1 offset:740
	s_and_b64 exec, exec, vcc
	s_cbranch_execz .LBB20_82
; %bb.80:
	v_cmp_gt_u32_e32 vcc, 37, v0
	ds_write_b32 v14, v1 offset:888
	s_and_b64 exec, exec, vcc
; %bb.81:
	v_mov_b32_e32 v1, 0
	ds_write_b32 v14, v1 offset:1036
.LBB20_82:
	s_or_b64 exec, exec, s[18:19]
	s_brev_b32 s18, -2
	v_lshrrev_b32_e32 v1, 20, v16
	v_mov_b32_e32 v2, 0x800
	v_cmp_ne_u32_e32 vcc, s18, v16
	v_cndmask_b32_e32 v1, v2, v1, vcc
	v_and_b32_e32 v2, 7, v1
	v_lshrrev_b32_e32 v1, 2, v1
	v_mad_u32_u24 v2, v2, 37, v0
	v_and_b32_e32 v1, 2, v1
	v_lshl_or_b32 v18, v2, 2, v1
	ds_read_u16 v17, v18
	s_waitcnt lgkmcnt(0)
	v_add_u16_e32 v1, 1, v17
	ds_write_b16 v18, v1
	s_waitcnt lgkmcnt(0)
	; wave barrier
	ds_read2_b64 v[5:8], v11 offset1:1
	ds_read2_b64 v[1:4], v11 offset0:2 offset1:3
	s_waitcnt lgkmcnt(1)
	v_add_u32_e32 v19, v6, v5
	v_add3_u32 v19, v19, v7, v8
	s_waitcnt lgkmcnt(0)
	v_add3_u32 v19, v19, v1, v2
	v_add3_u32 v4, v19, v3, v4
	s_nop 1
	v_mov_b32_dpp v19, v4 row_shr:1 row_mask:0xf bank_mask:0xf
	v_cndmask_b32_e64 v19, v19, 0, s[14:15]
	v_add_u32_e32 v4, v19, v4
	s_nop 1
	v_mov_b32_dpp v19, v4 row_shr:2 row_mask:0xf bank_mask:0xf
	v_cndmask_b32_e64 v19, 0, v19, s[12:13]
	v_add_u32_e32 v4, v4, v19
	;; [unrolled: 4-line block ×4, first 2 shown]
	s_nop 1
	v_mov_b32_dpp v19, v4 row_bcast:15 row_mask:0xf bank_mask:0xf
	v_cndmask_b32_e64 v19, v19, 0, s[6:7]
	v_add_u32_e32 v4, v4, v19
	s_nop 1
	v_mov_b32_dpp v19, v4 row_bcast:31 row_mask:0xf bank_mask:0xf
	v_cndmask_b32_e64 v19, 0, v19, s[4:5]
	v_add_u32_e32 v4, v4, v19
	s_and_saveexec_b64 s[18:19], s[2:3]
; %bb.83:
	v_mov_b32_e32 v19, 0
	ds_write_b32 v19, v4 offset:1184
; %bb.84:
	s_or_b64 exec, exec, s[18:19]
	ds_bpermute_b32 v19, v13, v4
	v_mov_b32_e32 v4, 0
	s_waitcnt lgkmcnt(0)
	; wave barrier
	ds_read_b32 v20, v4 offset:1184
	v_cndmask_b32_e64 v19, v19, 0, s[0:1]
	s_waitcnt lgkmcnt(0)
	v_lshl_add_u32 v19, v20, 16, v19
	v_add_u32_e32 v20, v19, v5
	v_add_u32_e32 v5, v20, v6
	;; [unrolled: 1-line block ×7, first 2 shown]
	ds_write2_b64 v11, v[19:20], v[5:6] offset1:1
	ds_write2_b64 v11, v[7:8], v[1:2] offset0:2 offset1:3
	s_waitcnt lgkmcnt(0)
	; wave barrier
	ds_read_u16 v1, v18
	v_mov_b32_e32 v2, 2
	v_lshlrev_b32_sdwa v2, v2, v17 dst_sel:DWORD dst_unused:UNUSED_PAD src0_sel:DWORD src1_sel:WORD_0
	s_waitcnt lgkmcnt(0)
	; wave barrier
	v_lshl_add_u32 v1, v1, 2, v2
	ds_write_b32 v1, v16
	s_waitcnt lgkmcnt(0)
	; wave barrier
	ds_read_b32 v16, v15
	s_waitcnt lgkmcnt(0)
	; wave barrier
	s_and_saveexec_b64 s[18:19], s[16:17]
	s_cbranch_execz .LBB20_93
; %bb.85:
	s_movk_i32 s20, 0x103
	v_cmp_gt_u32_e32 vcc, s20, v0
	ds_write_b32 v14, v4
	s_and_b64 exec, exec, vcc
	s_cbranch_execz .LBB20_93
; %bb.86:
	s_movk_i32 s20, 0xde
	v_mov_b32_e32 v1, 0
	v_cmp_gt_u32_e32 vcc, s20, v0
	ds_write_b32 v14, v1 offset:148
	s_and_b64 exec, exec, vcc
	s_cbranch_execz .LBB20_93
; %bb.87:
	s_movk_i32 s20, 0xb9
	v_cmp_gt_u32_e32 vcc, s20, v0
	ds_write_b32 v14, v1 offset:296
	s_and_b64 exec, exec, vcc
	s_cbranch_execz .LBB20_93
; %bb.88:
	s_movk_i32 s20, 0x94
	v_mov_b32_e32 v1, 0
	v_cmp_gt_u32_e32 vcc, s20, v0
	ds_write_b32 v14, v1 offset:444
	s_and_b64 exec, exec, vcc
	s_cbranch_execz .LBB20_93
; %bb.89:
	s_movk_i32 s20, 0x6f
	v_cmp_gt_u32_e32 vcc, s20, v0
	ds_write_b32 v14, v1 offset:592
	s_and_b64 exec, exec, vcc
	s_cbranch_execz .LBB20_93
; %bb.90:
	s_movk_i32 s20, 0x4a
	v_mov_b32_e32 v1, 0
	v_cmp_gt_u32_e32 vcc, s20, v0
	ds_write_b32 v14, v1 offset:740
	s_and_b64 exec, exec, vcc
	s_cbranch_execz .LBB20_93
; %bb.91:
	v_cmp_gt_u32_e32 vcc, 37, v0
	ds_write_b32 v14, v1 offset:888
	s_and_b64 exec, exec, vcc
; %bb.92:
	v_mov_b32_e32 v1, 0
	ds_write_b32 v14, v1 offset:1036
.LBB20_93:
	s_or_b64 exec, exec, s[18:19]
	s_brev_b32 s18, -2
	v_cmp_ne_u32_e32 vcc, s18, v16
	v_mov_b32_e32 v1, 0x80
	v_cndmask_b32_sdwa v1, v1, v16, vcc dst_sel:DWORD dst_unused:UNUSED_PAD src0_sel:DWORD src1_sel:BYTE_3
	v_and_b32_e32 v2, 7, v1
	v_lshrrev_b32_e32 v1, 2, v1
	v_mad_u32_u24 v2, v2, 37, v0
	v_and_b32_e32 v1, 2, v1
	v_lshl_or_b32 v18, v2, 2, v1
	ds_read_u16 v17, v18
	s_waitcnt lgkmcnt(0)
	v_add_u16_e32 v1, 1, v17
	ds_write_b16 v18, v1
	s_waitcnt lgkmcnt(0)
	; wave barrier
	ds_read2_b64 v[5:8], v11 offset1:1
	ds_read2_b64 v[1:4], v11 offset0:2 offset1:3
	s_waitcnt lgkmcnt(1)
	v_add_u32_e32 v19, v6, v5
	v_add3_u32 v19, v19, v7, v8
	s_waitcnt lgkmcnt(0)
	v_add3_u32 v19, v19, v1, v2
	v_add3_u32 v4, v19, v3, v4
	s_nop 1
	v_mov_b32_dpp v19, v4 row_shr:1 row_mask:0xf bank_mask:0xf
	v_cndmask_b32_e64 v19, v19, 0, s[14:15]
	v_add_u32_e32 v4, v19, v4
	s_nop 1
	v_mov_b32_dpp v19, v4 row_shr:2 row_mask:0xf bank_mask:0xf
	v_cndmask_b32_e64 v19, 0, v19, s[12:13]
	v_add_u32_e32 v4, v4, v19
	;; [unrolled: 4-line block ×4, first 2 shown]
	s_nop 1
	v_mov_b32_dpp v19, v4 row_bcast:15 row_mask:0xf bank_mask:0xf
	v_cndmask_b32_e64 v19, v19, 0, s[6:7]
	v_add_u32_e32 v4, v4, v19
	s_nop 1
	v_mov_b32_dpp v19, v4 row_bcast:31 row_mask:0xf bank_mask:0xf
	v_cndmask_b32_e64 v19, 0, v19, s[4:5]
	v_add_u32_e32 v4, v4, v19
	s_and_saveexec_b64 s[18:19], s[2:3]
; %bb.94:
	v_mov_b32_e32 v19, 0
	ds_write_b32 v19, v4 offset:1184
; %bb.95:
	s_or_b64 exec, exec, s[18:19]
	ds_bpermute_b32 v19, v13, v4
	v_mov_b32_e32 v4, 0
	s_waitcnt lgkmcnt(0)
	; wave barrier
	ds_read_b32 v20, v4 offset:1184
	v_cndmask_b32_e64 v19, v19, 0, s[0:1]
	s_waitcnt lgkmcnt(0)
	v_lshl_add_u32 v19, v20, 16, v19
	v_add_u32_e32 v20, v19, v5
	v_add_u32_e32 v5, v20, v6
	;; [unrolled: 1-line block ×7, first 2 shown]
	ds_write2_b64 v11, v[19:20], v[5:6] offset1:1
	ds_write2_b64 v11, v[7:8], v[1:2] offset0:2 offset1:3
	s_waitcnt lgkmcnt(0)
	; wave barrier
	ds_read_u16 v1, v18
	v_mov_b32_e32 v2, 2
	v_lshlrev_b32_sdwa v2, v2, v17 dst_sel:DWORD dst_unused:UNUSED_PAD src0_sel:DWORD src1_sel:WORD_0
	s_waitcnt lgkmcnt(0)
	; wave barrier
	v_lshl_add_u32 v1, v1, 2, v2
	ds_write_b32 v1, v16
	s_waitcnt lgkmcnt(0)
	; wave barrier
	ds_read_b32 v8, v15
	s_waitcnt lgkmcnt(0)
	; wave barrier
	s_and_saveexec_b64 s[18:19], s[16:17]
	s_cbranch_execz .LBB20_104
; %bb.96:
	s_movk_i32 s16, 0x103
	v_cmp_gt_u32_e32 vcc, s16, v0
	ds_write_b32 v14, v4
	s_and_b64 exec, exec, vcc
	s_cbranch_execz .LBB20_104
; %bb.97:
	s_movk_i32 s16, 0xde
	v_mov_b32_e32 v1, 0
	v_cmp_gt_u32_e32 vcc, s16, v0
	ds_write_b32 v14, v1 offset:148
	s_and_b64 exec, exec, vcc
	s_cbranch_execz .LBB20_104
; %bb.98:
	s_movk_i32 s16, 0xb9
	v_cmp_gt_u32_e32 vcc, s16, v0
	ds_write_b32 v14, v1 offset:296
	s_and_b64 exec, exec, vcc
	s_cbranch_execz .LBB20_104
; %bb.99:
	s_movk_i32 s16, 0x94
	v_mov_b32_e32 v1, 0
	v_cmp_gt_u32_e32 vcc, s16, v0
	ds_write_b32 v14, v1 offset:444
	s_and_b64 exec, exec, vcc
	s_cbranch_execz .LBB20_104
; %bb.100:
	s_movk_i32 s16, 0x6f
	v_cmp_gt_u32_e32 vcc, s16, v0
	ds_write_b32 v14, v1 offset:592
	s_and_b64 exec, exec, vcc
	s_cbranch_execz .LBB20_104
; %bb.101:
	s_movk_i32 s16, 0x4a
	v_mov_b32_e32 v1, 0
	v_cmp_gt_u32_e32 vcc, s16, v0
	ds_write_b32 v14, v1 offset:740
	s_and_b64 exec, exec, vcc
	s_cbranch_execz .LBB20_104
; %bb.102:
	v_cmp_gt_u32_e32 vcc, 37, v0
	ds_write_b32 v14, v1 offset:888
	s_and_b64 exec, exec, vcc
; %bb.103:
	v_mov_b32_e32 v1, 0
	ds_write_b32 v14, v1 offset:1036
.LBB20_104:
	s_or_b64 exec, exec, s[18:19]
	s_brev_b32 s16, -2
	v_lshrrev_b32_e32 v1, 28, v8
	v_cmp_ne_u32_e32 vcc, s16, v8
	v_cndmask_b32_e32 v1, 8, v1, vcc
	v_and_b32_e32 v2, 7, v1
	v_lshrrev_b32_e32 v1, 2, v1
	v_mad_u32_u24 v0, v2, 37, v0
	v_and_b32_e32 v1, 2, v1
	v_lshl_or_b32 v15, v0, 2, v1
	ds_read_u16 v14, v15
	s_waitcnt lgkmcnt(0)
	v_add_u16_e32 v0, 1, v14
	ds_write_b16 v15, v0
	s_waitcnt lgkmcnt(0)
	; wave barrier
	ds_read2_b64 v[4:7], v11 offset1:1
	ds_read2_b64 v[0:3], v11 offset0:2 offset1:3
	s_waitcnt lgkmcnt(1)
	v_add_u32_e32 v16, v5, v4
	v_add3_u32 v16, v16, v6, v7
	s_waitcnt lgkmcnt(0)
	v_add3_u32 v16, v16, v0, v1
	v_add3_u32 v3, v16, v2, v3
	s_nop 1
	v_mov_b32_dpp v16, v3 row_shr:1 row_mask:0xf bank_mask:0xf
	v_cndmask_b32_e64 v16, v16, 0, s[14:15]
	v_add_u32_e32 v3, v16, v3
	s_nop 1
	v_mov_b32_dpp v16, v3 row_shr:2 row_mask:0xf bank_mask:0xf
	v_cndmask_b32_e64 v16, 0, v16, s[12:13]
	v_add_u32_e32 v3, v3, v16
	;; [unrolled: 4-line block ×4, first 2 shown]
	s_nop 1
	v_mov_b32_dpp v16, v3 row_bcast:15 row_mask:0xf bank_mask:0xf
	v_cndmask_b32_e64 v16, v16, 0, s[6:7]
	v_add_u32_e32 v3, v3, v16
	s_nop 1
	v_mov_b32_dpp v16, v3 row_bcast:31 row_mask:0xf bank_mask:0xf
	v_cndmask_b32_e64 v16, 0, v16, s[4:5]
	v_add_u32_e32 v3, v3, v16
	s_and_saveexec_b64 s[4:5], s[2:3]
; %bb.105:
	v_mov_b32_e32 v16, 0
	ds_write_b32 v16, v3 offset:1184
; %bb.106:
	s_or_b64 exec, exec, s[4:5]
	ds_bpermute_b32 v3, v13, v3
	v_mov_b32_e32 v13, 0
	s_waitcnt lgkmcnt(0)
	; wave barrier
	ds_read_b32 v13, v13 offset:1184
	v_cndmask_b32_e64 v3, v3, 0, s[0:1]
	s_waitcnt lgkmcnt(0)
	v_lshl_add_u32 v3, v13, 16, v3
	v_add_u32_e32 v4, v3, v4
	v_add_u32_e32 v5, v4, v5
	;; [unrolled: 1-line block ×7, first 2 shown]
	ds_write2_b64 v11, v[3:4], v[5:6] offset1:1
	ds_write2_b64 v11, v[16:17], v[0:1] offset0:2 offset1:3
	s_waitcnt lgkmcnt(0)
	; wave barrier
	ds_read_u16 v0, v15
	v_mov_b32_e32 v1, 2
	v_lshlrev_b32_sdwa v1, v1, v14 dst_sel:DWORD dst_unused:UNUSED_PAD src0_sel:DWORD src1_sel:WORD_0
	s_waitcnt lgkmcnt(0)
	; wave barrier
	v_lshl_add_u32 v0, v0, 2, v1
	ds_write_b32 v0, v8
	s_waitcnt lgkmcnt(0)
	; wave barrier
.LBB20_107:
	v_add_u32_e32 v0, v11, v12
	ds_read_b32 v0, v0
	v_bfrev_b32_e32 v1, 1
	s_waitcnt lgkmcnt(0)
	v_cmp_lt_i32_e32 vcc, -1, v0
	v_cndmask_b32_e64 v1, v1, -1, vcc
	v_xor_b32_e32 v0, v1, v0
	global_store_dword v[9:10], v0, off
	s_endpgm
	.section	.rodata,"a",@progbits
	.p2align	6, 0x0
	.amdhsa_kernel _Z15sort_key_kernelILj37ELj1ELb0ELb0EfEvPT3_jj
		.amdhsa_group_segment_fixed_size 1200
		.amdhsa_private_segment_fixed_size 0
		.amdhsa_kernarg_size 16
		.amdhsa_user_sgpr_count 6
		.amdhsa_user_sgpr_private_segment_buffer 1
		.amdhsa_user_sgpr_dispatch_ptr 0
		.amdhsa_user_sgpr_queue_ptr 0
		.amdhsa_user_sgpr_kernarg_segment_ptr 1
		.amdhsa_user_sgpr_dispatch_id 0
		.amdhsa_user_sgpr_flat_scratch_init 0
		.amdhsa_user_sgpr_private_segment_size 0
		.amdhsa_uses_dynamic_stack 0
		.amdhsa_system_sgpr_private_segment_wavefront_offset 0
		.amdhsa_system_sgpr_workgroup_id_x 1
		.amdhsa_system_sgpr_workgroup_id_y 0
		.amdhsa_system_sgpr_workgroup_id_z 0
		.amdhsa_system_sgpr_workgroup_info 0
		.amdhsa_system_vgpr_workitem_id 0
		.amdhsa_next_free_vgpr 24
		.amdhsa_next_free_sgpr 40
		.amdhsa_reserve_vcc 1
		.amdhsa_reserve_flat_scratch 0
		.amdhsa_float_round_mode_32 0
		.amdhsa_float_round_mode_16_64 0
		.amdhsa_float_denorm_mode_32 3
		.amdhsa_float_denorm_mode_16_64 3
		.amdhsa_dx10_clamp 1
		.amdhsa_ieee_mode 1
		.amdhsa_fp16_overflow 0
		.amdhsa_exception_fp_ieee_invalid_op 0
		.amdhsa_exception_fp_denorm_src 0
		.amdhsa_exception_fp_ieee_div_zero 0
		.amdhsa_exception_fp_ieee_overflow 0
		.amdhsa_exception_fp_ieee_underflow 0
		.amdhsa_exception_fp_ieee_inexact 0
		.amdhsa_exception_int_div_zero 0
	.end_amdhsa_kernel
	.section	.text._Z15sort_key_kernelILj37ELj1ELb0ELb0EfEvPT3_jj,"axG",@progbits,_Z15sort_key_kernelILj37ELj1ELb0ELb0EfEvPT3_jj,comdat
.Lfunc_end20:
	.size	_Z15sort_key_kernelILj37ELj1ELb0ELb0EfEvPT3_jj, .Lfunc_end20-_Z15sort_key_kernelILj37ELj1ELb0ELb0EfEvPT3_jj
                                        ; -- End function
	.set _Z15sort_key_kernelILj37ELj1ELb0ELb0EfEvPT3_jj.num_vgpr, 24
	.set _Z15sort_key_kernelILj37ELj1ELb0ELb0EfEvPT3_jj.num_agpr, 0
	.set _Z15sort_key_kernelILj37ELj1ELb0ELb0EfEvPT3_jj.numbered_sgpr, 40
	.set _Z15sort_key_kernelILj37ELj1ELb0ELb0EfEvPT3_jj.num_named_barrier, 0
	.set _Z15sort_key_kernelILj37ELj1ELb0ELb0EfEvPT3_jj.private_seg_size, 0
	.set _Z15sort_key_kernelILj37ELj1ELb0ELb0EfEvPT3_jj.uses_vcc, 1
	.set _Z15sort_key_kernelILj37ELj1ELb0ELb0EfEvPT3_jj.uses_flat_scratch, 0
	.set _Z15sort_key_kernelILj37ELj1ELb0ELb0EfEvPT3_jj.has_dyn_sized_stack, 0
	.set _Z15sort_key_kernelILj37ELj1ELb0ELb0EfEvPT3_jj.has_recursion, 0
	.set _Z15sort_key_kernelILj37ELj1ELb0ELb0EfEvPT3_jj.has_indirect_call, 0
	.section	.AMDGPU.csdata,"",@progbits
; Kernel info:
; codeLenInByte = 6124
; TotalNumSgprs: 44
; NumVgprs: 24
; ScratchSize: 0
; MemoryBound: 0
; FloatMode: 240
; IeeeMode: 1
; LDSByteSize: 1200 bytes/workgroup (compile time only)
; SGPRBlocks: 5
; VGPRBlocks: 5
; NumSGPRsForWavesPerEU: 44
; NumVGPRsForWavesPerEU: 24
; Occupancy: 10
; WaveLimiterHint : 0
; COMPUTE_PGM_RSRC2:SCRATCH_EN: 0
; COMPUTE_PGM_RSRC2:USER_SGPR: 6
; COMPUTE_PGM_RSRC2:TRAP_HANDLER: 0
; COMPUTE_PGM_RSRC2:TGID_X_EN: 1
; COMPUTE_PGM_RSRC2:TGID_Y_EN: 0
; COMPUTE_PGM_RSRC2:TGID_Z_EN: 0
; COMPUTE_PGM_RSRC2:TIDIG_COMP_CNT: 0
	.section	.text._Z15sort_key_kernelILj65ELj1ELb0ELb0EdEvPT3_jj,"axG",@progbits,_Z15sort_key_kernelILj65ELj1ELb0ELb0EdEvPT3_jj,comdat
	.protected	_Z15sort_key_kernelILj65ELj1ELb0ELb0EdEvPT3_jj ; -- Begin function _Z15sort_key_kernelILj65ELj1ELb0ELb0EdEvPT3_jj
	.globl	_Z15sort_key_kernelILj65ELj1ELb0ELb0EdEvPT3_jj
	.p2align	8
	.type	_Z15sort_key_kernelILj65ELj1ELb0ELb0EdEvPT3_jj,@function
_Z15sort_key_kernelILj65ELj1ELb0ELb0EdEvPT3_jj: ; @_Z15sort_key_kernelILj65ELj1ELb0ELb0EdEvPT3_jj
; %bb.0:
	s_load_dwordx4 s[40:43], s[4:5], 0x0
	s_mul_i32 s0, s6, 0x41
	s_mov_b32 s1, 0
	s_lshl_b64 s[0:1], s[0:1], 3
	v_lshlrev_b32_e32 v3, 3, v0
	s_waitcnt lgkmcnt(0)
	s_add_u32 s24, s40, s0
	s_addc_u32 s25, s41, s1
	global_load_dwordx2 v[1:2], v3, s[24:25]
	v_mbcnt_lo_u32_b32 v4, -1, 0
	v_cmp_gt_u32_e32 vcc, 64, v0
	v_mbcnt_hi_u32_b32 v4, -1, v4
	v_cndmask_b32_e64 v5, 64, 63, vcc
	v_cmp_eq_u32_e64 s[8:9], v0, v5
	v_subrev_co_u32_e64 v5, s[10:11], 1, v4
	v_and_b32_e32 v9, 64, v4
	v_lshrrev_b32_e32 v6, 4, v0
	v_cmp_lt_i32_e32 vcc, v5, v9
	v_and_b32_e32 v7, 15, v4
	v_and_b32_e32 v8, 16, v4
	v_cmp_lt_u32_e64 s[6:7], 31, v4
	v_and_b32_e32 v19, 4, v6
	v_and_b32_e32 v6, 1, v4
	v_cndmask_b32_e32 v4, v5, v4, vcc
	s_cmp_eq_u32 s42, 0
	v_lshlrev_b32_e32 v21, 2, v4
	v_mov_b32_e32 v4, s25
	v_add_co_u32_e32 v9, vcc, s24, v3
	s_cselect_b64 s[24:25], -1, 0
	s_cmp_eq_u32 s43, 64
	s_cselect_b64 s[28:29], -1, 0
	v_addc_co_u32_e32 v10, vcc, 0, v4, vcc
	s_and_b64 s[24:25], s[24:25], s[28:29]
	s_and_b64 vcc, exec, s[24:25]
	v_bfrev_b32_e32 v16, 1
	s_movk_i32 s12, 0xffe4
	v_lshlrev_b32_e32 v17, 5, v0
	s_movk_i32 s0, 0x208
	v_lshlrev_b32_e32 v22, 2, v0
	v_mad_i32_i24 v20, v0, s12, v17
	s_movk_i32 s33, 0x41
	v_mov_b32_e32 v15, 0
	s_mov_b64 s[26:27], -1
	s_mov_b32 s40, -1
	v_cmp_gt_u32_e64 s[0:1], s0, v0
	v_cmp_lt_u32_e64 s[2:3], 63, v0
	v_cmp_gt_u32_e64 s[4:5], 2, v0
	v_cmp_eq_u32_e64 s[12:13], 0, v7
	v_cmp_lt_u32_e64 s[14:15], 1, v7
	v_cmp_lt_u32_e64 s[16:17], 3, v7
	;; [unrolled: 1-line block ×3, first 2 shown]
	v_cmp_eq_u32_e64 s[20:21], 0, v8
	v_cmp_eq_u32_e64 s[22:23], 0, v6
	v_add_u32_e32 v18, v20, v22
	s_waitcnt vmcnt(0)
	v_cmp_lt_i64_e64 s[24:25], -1, v[1:2]
	v_ashrrev_i32_e32 v4, 31, v2
	v_cndmask_b32_e64 v3, -1, v16, s[24:25]
	v_xor_b32_e32 v12, v3, v2
	v_xor_b32_e32 v11, v4, v1
	s_cbranch_vccnz .LBB21_21
; %bb.1:
	s_movk_i32 s24, 0x1c7
	s_movk_i32 s26, 0x186
	;; [unrolled: 1-line block ×6, first 2 shown]
	v_mov_b32_e32 v1, v11
	v_cmp_gt_u32_e64 s[24:25], s24, v0
	v_cmp_gt_u32_e64 s[26:27], s26, v0
	;; [unrolled: 1-line block ×7, first 2 shown]
	s_sub_i32 s46, s43, s42
	s_brev_b32 s41, -2
	v_mov_b32_e32 v23, 3
	v_mov_b32_e32 v2, v12
	s_branch .LBB21_3
.LBB21_2:                               ;   in Loop: Header=BB21_3 Depth=1
	s_andn2_b64 vcc, exec, s[44:45]
	s_cbranch_vccz .LBB21_20
.LBB21_3:                               ; =>This Inner Loop Header: Depth=1
	v_mov_b32_e32 v14, v2
	v_mov_b32_e32 v13, v1
	s_and_saveexec_b64 s[44:45], s[0:1]
	s_cbranch_execz .LBB21_12
; %bb.4:                                ;   in Loop: Header=BB21_3 Depth=1
	ds_write_b32 v22, v15
	s_and_b64 exec, exec, s[24:25]
	s_cbranch_execz .LBB21_12
; %bb.5:                                ;   in Loop: Header=BB21_3 Depth=1
	ds_write_b32 v22, v15 offset:260
	s_and_b64 exec, exec, s[26:27]
	s_cbranch_execz .LBB21_12
; %bb.6:                                ;   in Loop: Header=BB21_3 Depth=1
	ds_write_b32 v22, v15 offset:520
	;; [unrolled: 4-line block ×5, first 2 shown]
	s_and_b64 exec, exec, s[36:37]
	s_cbranch_execz .LBB21_12
; %bb.10:                               ;   in Loop: Header=BB21_3 Depth=1
	ds_write_b32 v22, v15 offset:1560
	s_and_b64 exec, exec, s[38:39]
; %bb.11:                               ;   in Loop: Header=BB21_3 Depth=1
	ds_write_b32 v22, v15 offset:1820
.LBB21_12:                              ;   in Loop: Header=BB21_3 Depth=1
	s_or_b64 exec, exec, s[44:45]
	v_cmp_ne_u64_e32 vcc, s[40:41], v[13:14]
	s_min_u32 s44, s46, 4
	v_cndmask_b32_e32 v2, v16, v14, vcc
	v_cndmask_b32_e32 v1, 0, v13, vcc
	v_lshrrev_b64 v[1:2], s42, v[1:2]
	v_bfe_u32 v1, v1, 0, s44
	v_and_b32_e32 v2, 7, v1
	v_lshrrev_b32_e32 v1, 2, v1
	v_mad_u32_u24 v2, v2, s33, v0
	v_and_b32_e32 v1, 30, v1
	v_lshl_add_u32 v25, v2, 2, v1
	ds_read_u16 v24, v25
	s_waitcnt lgkmcnt(0)
	v_add_u16_e32 v1, 1, v24
	ds_write_b16 v25, v1
	s_waitcnt lgkmcnt(0)
	s_barrier
	ds_read2_b64 v[5:8], v17 offset1:1
	ds_read2_b64 v[1:4], v17 offset0:2 offset1:3
	s_waitcnt lgkmcnt(1)
	v_add_u32_e32 v26, v6, v5
	v_add3_u32 v26, v26, v7, v8
	s_waitcnt lgkmcnt(0)
	v_add3_u32 v26, v26, v1, v2
	v_add3_u32 v4, v26, v3, v4
	s_nop 1
	v_mov_b32_dpp v26, v4 row_shr:1 row_mask:0xf bank_mask:0xf
	v_cndmask_b32_e64 v26, v26, 0, s[12:13]
	v_add_u32_e32 v4, v26, v4
	s_nop 1
	v_mov_b32_dpp v26, v4 row_shr:2 row_mask:0xf bank_mask:0xf
	v_cndmask_b32_e64 v26, 0, v26, s[14:15]
	v_add_u32_e32 v4, v4, v26
	;; [unrolled: 4-line block ×4, first 2 shown]
	s_nop 1
	v_mov_b32_dpp v26, v4 row_bcast:15 row_mask:0xf bank_mask:0xf
	v_cndmask_b32_e64 v26, v26, 0, s[20:21]
	v_add_u32_e32 v4, v4, v26
	s_nop 1
	v_mov_b32_dpp v26, v4 row_bcast:31 row_mask:0xf bank_mask:0xf
	v_cndmask_b32_e64 v26, 0, v26, s[6:7]
	v_add_u32_e32 v4, v4, v26
	s_and_saveexec_b64 s[44:45], s[8:9]
; %bb.13:                               ;   in Loop: Header=BB21_3 Depth=1
	ds_write_b32 v19, v4 offset:2080
; %bb.14:                               ;   in Loop: Header=BB21_3 Depth=1
	s_or_b64 exec, exec, s[44:45]
	s_waitcnt lgkmcnt(0)
	s_barrier
	s_and_saveexec_b64 s[44:45], s[4:5]
	s_cbranch_execz .LBB21_16
; %bb.15:                               ;   in Loop: Header=BB21_3 Depth=1
	ds_read_b32 v26, v20 offset:2080
	s_waitcnt lgkmcnt(0)
	s_nop 0
	v_mov_b32_dpp v27, v26 row_shr:1 row_mask:0xf bank_mask:0xf
	v_cndmask_b32_e64 v27, v27, 0, s[22:23]
	v_add_u32_e32 v26, v27, v26
	ds_write_b32 v20, v26 offset:2080
.LBB21_16:                              ;   in Loop: Header=BB21_3 Depth=1
	s_or_b64 exec, exec, s[44:45]
	v_mov_b32_e32 v26, 0
	s_waitcnt lgkmcnt(0)
	s_barrier
	s_and_saveexec_b64 s[44:45], s[2:3]
; %bb.17:                               ;   in Loop: Header=BB21_3 Depth=1
	ds_read_b32 v26, v19 offset:2076
; %bb.18:                               ;   in Loop: Header=BB21_3 Depth=1
	s_or_b64 exec, exec, s[44:45]
	s_waitcnt lgkmcnt(0)
	v_add_u32_e32 v4, v26, v4
	ds_bpermute_b32 v4, v21, v4
	ds_read_b32 v27, v15 offset:2084
	s_add_i32 s42, s42, 4
	s_cmp_ge_u32 s42, s43
	s_mov_b64 s[44:45], -1
	s_waitcnt lgkmcnt(1)
	v_cndmask_b32_e64 v4, v4, v26, s[10:11]
	s_waitcnt lgkmcnt(0)
	v_lshl_add_u32 v4, v27, 16, v4
	v_add_u32_e32 v5, v4, v5
	v_add_u32_e32 v6, v5, v6
	;; [unrolled: 1-line block ×7, first 2 shown]
	ds_write2_b64 v17, v[4:5], v[6:7] offset1:1
	ds_write2_b64 v17, v[26:27], v[1:2] offset0:2 offset1:3
	s_waitcnt lgkmcnt(0)
	s_barrier
	ds_read_u16 v1, v25
	v_lshlrev_b32_sdwa v2, v23, v24 dst_sel:DWORD dst_unused:UNUSED_PAD src0_sel:DWORD src1_sel:WORD_0
	s_waitcnt lgkmcnt(0)
	v_lshl_add_u32 v3, v1, 3, v2
                                        ; implicit-def: $vgpr1_vgpr2
	s_cbranch_scc1 .LBB21_2
; %bb.19:                               ;   in Loop: Header=BB21_3 Depth=1
	s_barrier
	ds_write_b64 v3, v[13:14]
	s_waitcnt lgkmcnt(0)
	s_barrier
	ds_read_b64 v[1:2], v18
	s_add_i32 s46, s46, -4
	s_mov_b64 s[44:45], 0
	s_waitcnt lgkmcnt(0)
	s_barrier
	s_branch .LBB21_2
.LBB21_20:
	s_mov_b64 s[26:27], 0
	s_barrier
	ds_write_b64 v3, v[13:14]
	s_waitcnt lgkmcnt(0)
	s_barrier
.LBB21_21:
	s_and_b64 vcc, exec, s[26:27]
	s_cbranch_vccz .LBB21_42
; %bb.22:
	s_movk_i32 s33, 0xc3
	v_cmp_gt_u32_e64 s[34:35], s33, v0
	s_movk_i32 s33, 0x82
	v_sub_u32_e32 v1, 0, v22
	s_movk_i32 s24, 0x1c7
	s_movk_i32 s26, 0x186
	s_movk_i32 s28, 0x145
	s_movk_i32 s30, 0x104
	v_cmp_gt_u32_e64 s[36:37], s33, v0
	s_movk_i32 s33, 0x41
	v_mov_b32_e32 v13, 0
	s_mov_b32 s40, -1
	v_cmp_gt_u32_e64 s[24:25], s24, v0
	v_cmp_gt_u32_e64 s[26:27], s26, v0
	v_cmp_gt_u32_e64 s[28:29], s28, v0
	v_cmp_gt_u32_e64 s[30:31], s30, v0
	v_cmp_gt_u32_e64 s[38:39], s33, v0
	v_mov_b32_e32 v14, 0
	v_add_u32_e32 v22, v18, v1
	v_mov_b32_e32 v23, 0
	s_brev_b32 s41, -2
	v_bfrev_b32_e32 v24, 1
	s_branch .LBB21_24
.LBB21_23:                              ;   in Loop: Header=BB21_24 Depth=1
	s_andn2_b64 vcc, exec, s[42:43]
	s_cbranch_vccz .LBB21_41
.LBB21_24:                              ; =>This Inner Loop Header: Depth=1
	v_mov_b32_e32 v16, v12
	v_mov_b32_e32 v15, v11
	s_and_saveexec_b64 s[42:43], s[0:1]
	s_cbranch_execz .LBB21_33
; %bb.25:                               ;   in Loop: Header=BB21_24 Depth=1
	ds_write_b32 v22, v23
	s_and_b64 exec, exec, s[24:25]
	s_cbranch_execz .LBB21_33
; %bb.26:                               ;   in Loop: Header=BB21_24 Depth=1
	ds_write_b32 v22, v23 offset:260
	s_and_b64 exec, exec, s[26:27]
	s_cbranch_execz .LBB21_33
; %bb.27:                               ;   in Loop: Header=BB21_24 Depth=1
	ds_write_b32 v22, v23 offset:520
	s_and_b64 exec, exec, s[28:29]
	s_cbranch_execz .LBB21_33
; %bb.28:                               ;   in Loop: Header=BB21_24 Depth=1
	ds_write_b32 v22, v23 offset:780
	s_and_b64 exec, exec, s[30:31]
	s_cbranch_execz .LBB21_33
; %bb.29:                               ;   in Loop: Header=BB21_24 Depth=1
	ds_write_b32 v22, v23 offset:1040
	s_and_b64 exec, exec, s[34:35]
	s_cbranch_execz .LBB21_33
; %bb.30:                               ;   in Loop: Header=BB21_24 Depth=1
	ds_write_b32 v22, v23 offset:1300
	s_and_b64 exec, exec, s[36:37]
	s_cbranch_execz .LBB21_33
; %bb.31:                               ;   in Loop: Header=BB21_24 Depth=1
	ds_write_b32 v22, v23 offset:1560
	s_and_b64 exec, exec, s[38:39]
; %bb.32:                               ;   in Loop: Header=BB21_24 Depth=1
	ds_write_b32 v22, v23 offset:1820
.LBB21_33:                              ;   in Loop: Header=BB21_24 Depth=1
	s_or_b64 exec, exec, s[42:43]
	v_cmp_ne_u64_e32 vcc, s[40:41], v[15:16]
	v_cndmask_b32_e32 v2, v24, v16, vcc
	v_cndmask_b32_e32 v1, 0, v15, vcc
	v_lshrrev_b64 v[1:2], v13, v[1:2]
	v_and_b32_e32 v2, 7, v1
	v_lshrrev_b32_e32 v1, 2, v1
	v_mad_u32_u24 v2, v2, s33, v0
	v_and_b32_e32 v1, 2, v1
	v_lshl_or_b32 v12, v2, 2, v1
	ds_read_u16 v11, v12
	s_waitcnt lgkmcnt(0)
	v_add_u16_e32 v1, 1, v11
	ds_write_b16 v12, v1
	s_waitcnt lgkmcnt(0)
	s_barrier
	ds_read2_b64 v[5:8], v17 offset1:1
	ds_read2_b64 v[1:4], v17 offset0:2 offset1:3
	s_waitcnt lgkmcnt(1)
	v_add_u32_e32 v25, v6, v5
	v_add3_u32 v25, v25, v7, v8
	s_waitcnt lgkmcnt(0)
	v_add3_u32 v25, v25, v1, v2
	v_add3_u32 v4, v25, v3, v4
	s_nop 1
	v_mov_b32_dpp v25, v4 row_shr:1 row_mask:0xf bank_mask:0xf
	v_cndmask_b32_e64 v25, v25, 0, s[12:13]
	v_add_u32_e32 v4, v25, v4
	s_nop 1
	v_mov_b32_dpp v25, v4 row_shr:2 row_mask:0xf bank_mask:0xf
	v_cndmask_b32_e64 v25, 0, v25, s[14:15]
	v_add_u32_e32 v4, v4, v25
	;; [unrolled: 4-line block ×4, first 2 shown]
	s_nop 1
	v_mov_b32_dpp v25, v4 row_bcast:15 row_mask:0xf bank_mask:0xf
	v_cndmask_b32_e64 v25, v25, 0, s[20:21]
	v_add_u32_e32 v4, v4, v25
	s_nop 1
	v_mov_b32_dpp v25, v4 row_bcast:31 row_mask:0xf bank_mask:0xf
	v_cndmask_b32_e64 v25, 0, v25, s[6:7]
	v_add_u32_e32 v4, v4, v25
	s_and_saveexec_b64 s[42:43], s[8:9]
; %bb.34:                               ;   in Loop: Header=BB21_24 Depth=1
	ds_write_b32 v19, v4 offset:2080
; %bb.35:                               ;   in Loop: Header=BB21_24 Depth=1
	s_or_b64 exec, exec, s[42:43]
	s_waitcnt lgkmcnt(0)
	s_barrier
	s_and_saveexec_b64 s[42:43], s[4:5]
	s_cbranch_execz .LBB21_37
; %bb.36:                               ;   in Loop: Header=BB21_24 Depth=1
	ds_read_b32 v25, v20 offset:2080
	s_waitcnt lgkmcnt(0)
	s_nop 0
	v_mov_b32_dpp v26, v25 row_shr:1 row_mask:0xf bank_mask:0xf
	v_cndmask_b32_e64 v26, v26, 0, s[22:23]
	v_add_u32_e32 v25, v26, v25
	ds_write_b32 v20, v25 offset:2080
.LBB21_37:                              ;   in Loop: Header=BB21_24 Depth=1
	s_or_b64 exec, exec, s[42:43]
	v_mov_b32_e32 v25, 0
	s_waitcnt lgkmcnt(0)
	s_barrier
	s_and_saveexec_b64 s[42:43], s[2:3]
; %bb.38:                               ;   in Loop: Header=BB21_24 Depth=1
	ds_read_b32 v25, v19 offset:2076
; %bb.39:                               ;   in Loop: Header=BB21_24 Depth=1
	s_or_b64 exec, exec, s[42:43]
	s_waitcnt lgkmcnt(0)
	v_add_u32_e32 v4, v25, v4
	ds_bpermute_b32 v4, v21, v4
	ds_read_b32 v26, v23 offset:2084
	v_cmp_lt_u32_e32 vcc, 59, v13
	s_and_b64 vcc, exec, vcc
	s_mov_b64 s[42:43], -1
	s_waitcnt lgkmcnt(1)
	v_cndmask_b32_e64 v4, v4, v25, s[10:11]
	s_waitcnt lgkmcnt(0)
	v_lshl_add_u32 v4, v26, 16, v4
	v_add_u32_e32 v5, v4, v5
	v_add_u32_e32 v6, v5, v6
	;; [unrolled: 1-line block ×7, first 2 shown]
	ds_write2_b64 v17, v[4:5], v[6:7] offset1:1
	ds_write2_b64 v17, v[25:26], v[1:2] offset0:2 offset1:3
	s_waitcnt lgkmcnt(0)
	s_barrier
	ds_read_u16 v1, v12
	s_waitcnt lgkmcnt(0)
	v_add_u32_sdwa v1, v1, v11 dst_sel:DWORD dst_unused:UNUSED_PAD src0_sel:DWORD src1_sel:WORD_0
                                        ; implicit-def: $vgpr11_vgpr12
	s_cbranch_vccnz .LBB21_23
; %bb.40:                               ;   in Loop: Header=BB21_24 Depth=1
	v_lshlrev_b32_e32 v2, 3, v1
	s_barrier
	ds_write_b64 v2, v[15:16]
	s_waitcnt lgkmcnt(0)
	s_barrier
	ds_read_b64 v[11:12], v18
	v_add_co_u32_e32 v13, vcc, 4, v13
	v_addc_co_u32_e32 v14, vcc, 0, v14, vcc
	s_mov_b64 s[42:43], 0
	s_waitcnt lgkmcnt(0)
	s_barrier
	s_branch .LBB21_23
.LBB21_41:
	v_lshlrev_b32_e32 v0, 3, v1
	s_barrier
	ds_write_b64 v0, v[15:16]
	s_waitcnt lgkmcnt(0)
	s_barrier
.LBB21_42:
	ds_read_b64 v[0:1], v18
	v_bfrev_b32_e32 v2, 1
	s_waitcnt lgkmcnt(0)
	v_cmp_lt_i64_e32 vcc, -1, v[0:1]
	v_ashrrev_i32_e32 v3, 31, v1
	v_cndmask_b32_e64 v2, v2, -1, vcc
	v_not_b32_e32 v3, v3
	v_xor_b32_e32 v1, v2, v1
	v_xor_b32_e32 v0, v3, v0
	global_store_dwordx2 v[9:10], v[0:1], off
	s_endpgm
	.section	.rodata,"a",@progbits
	.p2align	6, 0x0
	.amdhsa_kernel _Z15sort_key_kernelILj65ELj1ELb0ELb0EdEvPT3_jj
		.amdhsa_group_segment_fixed_size 2096
		.amdhsa_private_segment_fixed_size 0
		.amdhsa_kernarg_size 16
		.amdhsa_user_sgpr_count 6
		.amdhsa_user_sgpr_private_segment_buffer 1
		.amdhsa_user_sgpr_dispatch_ptr 0
		.amdhsa_user_sgpr_queue_ptr 0
		.amdhsa_user_sgpr_kernarg_segment_ptr 1
		.amdhsa_user_sgpr_dispatch_id 0
		.amdhsa_user_sgpr_flat_scratch_init 0
		.amdhsa_user_sgpr_private_segment_size 0
		.amdhsa_uses_dynamic_stack 0
		.amdhsa_system_sgpr_private_segment_wavefront_offset 0
		.amdhsa_system_sgpr_workgroup_id_x 1
		.amdhsa_system_sgpr_workgroup_id_y 0
		.amdhsa_system_sgpr_workgroup_id_z 0
		.amdhsa_system_sgpr_workgroup_info 0
		.amdhsa_system_vgpr_workitem_id 0
		.amdhsa_next_free_vgpr 29
		.amdhsa_next_free_sgpr 61
		.amdhsa_reserve_vcc 1
		.amdhsa_reserve_flat_scratch 0
		.amdhsa_float_round_mode_32 0
		.amdhsa_float_round_mode_16_64 0
		.amdhsa_float_denorm_mode_32 3
		.amdhsa_float_denorm_mode_16_64 3
		.amdhsa_dx10_clamp 1
		.amdhsa_ieee_mode 1
		.amdhsa_fp16_overflow 0
		.amdhsa_exception_fp_ieee_invalid_op 0
		.amdhsa_exception_fp_denorm_src 0
		.amdhsa_exception_fp_ieee_div_zero 0
		.amdhsa_exception_fp_ieee_overflow 0
		.amdhsa_exception_fp_ieee_underflow 0
		.amdhsa_exception_fp_ieee_inexact 0
		.amdhsa_exception_int_div_zero 0
	.end_amdhsa_kernel
	.section	.text._Z15sort_key_kernelILj65ELj1ELb0ELb0EdEvPT3_jj,"axG",@progbits,_Z15sort_key_kernelILj65ELj1ELb0ELb0EdEvPT3_jj,comdat
.Lfunc_end21:
	.size	_Z15sort_key_kernelILj65ELj1ELb0ELb0EdEvPT3_jj, .Lfunc_end21-_Z15sort_key_kernelILj65ELj1ELb0ELb0EdEvPT3_jj
                                        ; -- End function
	.set _Z15sort_key_kernelILj65ELj1ELb0ELb0EdEvPT3_jj.num_vgpr, 28
	.set _Z15sort_key_kernelILj65ELj1ELb0ELb0EdEvPT3_jj.num_agpr, 0
	.set _Z15sort_key_kernelILj65ELj1ELb0ELb0EdEvPT3_jj.numbered_sgpr, 47
	.set _Z15sort_key_kernelILj65ELj1ELb0ELb0EdEvPT3_jj.num_named_barrier, 0
	.set _Z15sort_key_kernelILj65ELj1ELb0ELb0EdEvPT3_jj.private_seg_size, 0
	.set _Z15sort_key_kernelILj65ELj1ELb0ELb0EdEvPT3_jj.uses_vcc, 1
	.set _Z15sort_key_kernelILj65ELj1ELb0ELb0EdEvPT3_jj.uses_flat_scratch, 0
	.set _Z15sort_key_kernelILj65ELj1ELb0ELb0EdEvPT3_jj.has_dyn_sized_stack, 0
	.set _Z15sort_key_kernelILj65ELj1ELb0ELb0EdEvPT3_jj.has_recursion, 0
	.set _Z15sort_key_kernelILj65ELj1ELb0ELb0EdEvPT3_jj.has_indirect_call, 0
	.section	.AMDGPU.csdata,"",@progbits
; Kernel info:
; codeLenInByte = 2116
; TotalNumSgprs: 51
; NumVgprs: 28
; ScratchSize: 0
; MemoryBound: 0
; FloatMode: 240
; IeeeMode: 1
; LDSByteSize: 2096 bytes/workgroup (compile time only)
; SGPRBlocks: 8
; VGPRBlocks: 7
; NumSGPRsForWavesPerEU: 65
; NumVGPRsForWavesPerEU: 29
; Occupancy: 8
; WaveLimiterHint : 0
; COMPUTE_PGM_RSRC2:SCRATCH_EN: 0
; COMPUTE_PGM_RSRC2:USER_SGPR: 6
; COMPUTE_PGM_RSRC2:TRAP_HANDLER: 0
; COMPUTE_PGM_RSRC2:TGID_X_EN: 1
; COMPUTE_PGM_RSRC2:TGID_Y_EN: 0
; COMPUTE_PGM_RSRC2:TGID_Z_EN: 0
; COMPUTE_PGM_RSRC2:TIDIG_COMP_CNT: 0
	.section	.text._Z15sort_key_kernelILj1024ELj1ELb0ELb1EtEvPT3_jj,"axG",@progbits,_Z15sort_key_kernelILj1024ELj1ELb0ELb1EtEvPT3_jj,comdat
	.protected	_Z15sort_key_kernelILj1024ELj1ELb0ELb1EtEvPT3_jj ; -- Begin function _Z15sort_key_kernelILj1024ELj1ELb0ELb1EtEvPT3_jj
	.globl	_Z15sort_key_kernelILj1024ELj1ELb0ELb1EtEvPT3_jj
	.p2align	8
	.type	_Z15sort_key_kernelILj1024ELj1ELb0ELb1EtEvPT3_jj,@function
_Z15sort_key_kernelILj1024ELj1ELb0ELb1EtEvPT3_jj: ; @_Z15sort_key_kernelILj1024ELj1ELb0ELb1EtEvPT3_jj
; %bb.0:
	s_load_dwordx4 s[24:27], s[4:5], 0x0
	s_load_dword s33, s[4:5], 0x1c
	s_lshl_b32 s22, s6, 10
	s_mov_b32 s23, 0
	s_lshl_b64 s[0:1], s[22:23], 1
	s_waitcnt lgkmcnt(0)
	s_add_u32 s28, s24, s0
	s_addc_u32 s29, s25, s1
	v_lshlrev_b32_e32 v12, 1, v0
	global_load_ushort v3, v12, s[28:29]
	v_mbcnt_lo_u32_b32 v4, -1, 0
	v_mbcnt_hi_u32_b32 v4, -1, v4
	v_and_b32_e32 v5, 63, v0
	v_cmp_eq_u32_e64 s[16:17], 63, v5
	v_subrev_co_u32_e64 v5, s[2:3], 1, v4
	v_and_b32_e32 v14, 64, v4
	s_cmp_eq_u32 s26, 0
	v_cmp_lt_i32_e32 vcc, v5, v14
	s_cselect_b64 s[30:31], -1, 0
	s_cmp_eq_u32 s27, 16
	v_cndmask_b32_e32 v5, v5, v4, vcc
	s_cselect_b64 s[34:35], -1, 0
	s_lshr_b32 s22, s33, 16
	v_lshlrev_b32_e32 v14, 2, v5
	v_mov_b32_e32 v5, s29
	s_and_b32 s29, s33, 0xffff
	v_mad_u32_u24 v1, v2, s22, v1
	v_lshlrev_b32_e32 v13, 4, v0
	v_cmp_gt_u32_e64 s[6:7], 16, v0
	v_cmp_lt_u32_e64 s[4:5], 63, v0
	v_cmp_eq_u32_e64 s[0:1], 0, v0
	v_lshrrev_b32_e32 v7, 4, v0
	v_mul_i32_i24_e32 v8, -12, v0
	v_and_b32_e32 v9, 0x3c0, v0
	v_mad_u64_u32 v[0:1], s[36:37], v1, s29, v[0:1]
	v_and_b32_e32 v17, 60, v7
	v_lshlrev_b32_e32 v7, 1, v9
	v_and_b32_e32 v10, 15, v4
	v_and_b32_e32 v11, 16, v4
	v_cmp_lt_u32_e64 s[18:19], 31, v4
	v_lshl_add_u32 v18, v4, 1, v7
	v_add_co_u32_e32 v4, vcc, s28, v12
	v_addc_co_u32_e32 v5, vcc, 0, v5, vcc
	s_and_b64 s[28:29], s[30:31], s[34:35]
	v_lshrrev_b32_e32 v0, 6, v0
	v_mov_b32_e32 v6, 0
	s_mov_b64 s[24:25], -1
	v_add_u32_e32 v16, v13, v8
	v_cmp_eq_u32_e64 s[14:15], 0, v10
	v_cmp_lt_u32_e64 s[12:13], 1, v10
	v_cmp_lt_u32_e64 s[10:11], 3, v10
	;; [unrolled: 1-line block ×3, first 2 shown]
	v_cmp_eq_u32_e64 s[20:21], 0, v11
	v_add_u32_e32 v15, -4, v17
	s_and_b64 vcc, exec, s[28:29]
	v_lshlrev_b32_e32 v19, 2, v0
	s_waitcnt vmcnt(0)
	v_xor_b32_e32 v20, -1, v3
	s_cbranch_vccnz .LBB22_14
; %bb.1:
	s_mov_b32 s22, s23
	s_mov_b32 s28, s23
	s_mov_b32 s29, s23
	v_mov_b32_e32 v8, s22
	v_mov_b32_e32 v10, s28
	s_sub_i32 s24, s27, s26
	v_mov_b32_e32 v9, s23
	v_mov_b32_e32 v11, s29
	;; [unrolled: 1-line block ×3, first 2 shown]
	s_branch .LBB22_3
.LBB22_2:                               ;   in Loop: Header=BB22_3 Depth=1
	s_andn2_b64 vcc, exec, s[22:23]
	s_cbranch_vccz .LBB22_13
.LBB22_3:                               ; =>This Inner Loop Header: Depth=1
	v_mov_b32_e32 v21, v1
	s_min_u32 s22, s24, 8
	v_lshrrev_b32_sdwa v0, s26, v21 dst_sel:DWORD dst_unused:UNUSED_PAD src0_sel:DWORD src1_sel:WORD_0
	v_bfe_u32 v0, v0, 0, s22
	v_and_b32_e32 v1, 1, v0
	v_add_co_u32_e32 v3, vcc, -1, v1
	v_addc_co_u32_e64 v7, s[22:23], 0, -1, vcc
	v_cmp_ne_u32_e32 vcc, 0, v1
	v_xor_b32_e32 v1, vcc_hi, v7
	v_lshlrev_b32_e32 v7, 30, v0
	v_xor_b32_e32 v3, vcc_lo, v3
	v_cmp_gt_i64_e32 vcc, 0, v[6:7]
	v_not_b32_e32 v7, v7
	v_ashrrev_i32_e32 v7, 31, v7
	v_and_b32_e32 v3, exec_lo, v3
	v_xor_b32_e32 v22, vcc_hi, v7
	v_xor_b32_e32 v7, vcc_lo, v7
	v_and_b32_e32 v3, v3, v7
	v_lshlrev_b32_e32 v7, 29, v0
	v_cmp_gt_i64_e32 vcc, 0, v[6:7]
	v_not_b32_e32 v7, v7
	v_and_b32_e32 v1, exec_hi, v1
	v_ashrrev_i32_e32 v7, 31, v7
	v_and_b32_e32 v1, v1, v22
	v_xor_b32_e32 v22, vcc_hi, v7
	v_xor_b32_e32 v7, vcc_lo, v7
	v_and_b32_e32 v3, v3, v7
	v_lshlrev_b32_e32 v7, 28, v0
	v_cmp_gt_i64_e32 vcc, 0, v[6:7]
	v_not_b32_e32 v7, v7
	v_ashrrev_i32_e32 v7, 31, v7
	v_and_b32_e32 v1, v1, v22
	v_xor_b32_e32 v22, vcc_hi, v7
	v_xor_b32_e32 v7, vcc_lo, v7
	v_and_b32_e32 v3, v3, v7
	v_lshlrev_b32_e32 v7, 27, v0
	v_cmp_gt_i64_e32 vcc, 0, v[6:7]
	v_not_b32_e32 v7, v7
	;; [unrolled: 8-line block ×4, first 2 shown]
	v_ashrrev_i32_e32 v7, 31, v7
	v_and_b32_e32 v1, v1, v22
	v_xor_b32_e32 v22, vcc_hi, v7
	v_xor_b32_e32 v7, vcc_lo, v7
	v_and_b32_e32 v3, v3, v7
	v_lshlrev_b32_e32 v7, 24, v0
	v_lshlrev_b32_e32 v2, 6, v0
	v_cmp_gt_i64_e32 vcc, 0, v[6:7]
	v_not_b32_e32 v0, v7
	v_ashrrev_i32_e32 v0, 31, v0
	v_xor_b32_e32 v7, vcc_hi, v0
	v_xor_b32_e32 v0, vcc_lo, v0
	v_and_b32_e32 v1, v1, v22
	v_and_b32_e32 v0, v3, v0
	;; [unrolled: 1-line block ×3, first 2 shown]
	v_mbcnt_lo_u32_b32 v3, v0, 0
	v_mbcnt_hi_u32_b32 v7, v1, v3
	v_cmp_ne_u64_e32 vcc, 0, v[0:1]
	v_cmp_eq_u32_e64 s[22:23], 0, v7
	s_and_b64 s[28:29], vcc, s[22:23]
	v_add_u32_e32 v22, v19, v2
	ds_write2_b64 v13, v[8:9], v[10:11] offset0:8 offset1:9
	s_waitcnt lgkmcnt(0)
	s_barrier
	; wave barrier
	s_and_saveexec_b64 s[22:23], s[28:29]
; %bb.4:                                ;   in Loop: Header=BB22_3 Depth=1
	v_bcnt_u32_b32 v0, v0, 0
	v_bcnt_u32_b32 v0, v1, v0
	ds_write_b32 v22, v0 offset:64
; %bb.5:                                ;   in Loop: Header=BB22_3 Depth=1
	s_or_b64 exec, exec, s[22:23]
	; wave barrier
	s_waitcnt lgkmcnt(0)
	s_barrier
	ds_read2_b64 v[0:3], v13 offset0:8 offset1:9
	s_waitcnt lgkmcnt(0)
	v_add_u32_e32 v23, v1, v0
	v_add3_u32 v3, v23, v2, v3
	s_nop 1
	v_mov_b32_dpp v23, v3 row_shr:1 row_mask:0xf bank_mask:0xf
	v_cndmask_b32_e64 v23, v23, 0, s[14:15]
	v_add_u32_e32 v3, v23, v3
	s_nop 1
	v_mov_b32_dpp v23, v3 row_shr:2 row_mask:0xf bank_mask:0xf
	v_cndmask_b32_e64 v23, 0, v23, s[12:13]
	v_add_u32_e32 v3, v3, v23
	s_nop 1
	v_mov_b32_dpp v23, v3 row_shr:4 row_mask:0xf bank_mask:0xf
	v_cndmask_b32_e64 v23, 0, v23, s[10:11]
	v_add_u32_e32 v3, v3, v23
	s_nop 1
	v_mov_b32_dpp v23, v3 row_shr:8 row_mask:0xf bank_mask:0xf
	v_cndmask_b32_e64 v23, 0, v23, s[8:9]
	v_add_u32_e32 v3, v3, v23
	s_nop 1
	v_mov_b32_dpp v23, v3 row_bcast:15 row_mask:0xf bank_mask:0xf
	v_cndmask_b32_e64 v23, v23, 0, s[20:21]
	v_add_u32_e32 v3, v3, v23
	s_nop 1
	v_mov_b32_dpp v23, v3 row_bcast:31 row_mask:0xf bank_mask:0xf
	v_cndmask_b32_e64 v23, 0, v23, s[18:19]
	v_add_u32_e32 v3, v3, v23
	s_and_saveexec_b64 s[22:23], s[16:17]
; %bb.6:                                ;   in Loop: Header=BB22_3 Depth=1
	ds_write_b32 v17, v3
; %bb.7:                                ;   in Loop: Header=BB22_3 Depth=1
	s_or_b64 exec, exec, s[22:23]
	s_waitcnt lgkmcnt(0)
	s_barrier
	s_and_saveexec_b64 s[22:23], s[6:7]
	s_cbranch_execz .LBB22_9
; %bb.8:                                ;   in Loop: Header=BB22_3 Depth=1
	ds_read_b32 v23, v16
	s_waitcnt lgkmcnt(0)
	s_nop 0
	v_mov_b32_dpp v24, v23 row_shr:1 row_mask:0xf bank_mask:0xf
	v_cndmask_b32_e64 v24, v24, 0, s[14:15]
	v_add_u32_e32 v23, v24, v23
	s_nop 1
	v_mov_b32_dpp v24, v23 row_shr:2 row_mask:0xf bank_mask:0xf
	v_cndmask_b32_e64 v24, 0, v24, s[12:13]
	v_add_u32_e32 v23, v23, v24
	;; [unrolled: 4-line block ×4, first 2 shown]
	ds_write_b32 v16, v23
.LBB22_9:                               ;   in Loop: Header=BB22_3 Depth=1
	s_or_b64 exec, exec, s[22:23]
	v_mov_b32_e32 v23, 0
	s_waitcnt lgkmcnt(0)
	s_barrier
	s_and_saveexec_b64 s[22:23], s[4:5]
; %bb.10:                               ;   in Loop: Header=BB22_3 Depth=1
	ds_read_b32 v23, v15
; %bb.11:                               ;   in Loop: Header=BB22_3 Depth=1
	s_or_b64 exec, exec, s[22:23]
	s_waitcnt lgkmcnt(0)
	v_add_u32_e32 v3, v23, v3
	ds_bpermute_b32 v3, v14, v3
	s_add_i32 s26, s26, 8
	s_cmp_ge_u32 s26, s27
	s_mov_b64 s[22:23], -1
	s_waitcnt lgkmcnt(0)
	v_cndmask_b32_e64 v3, v3, v23, s[2:3]
	v_cndmask_b32_e64 v23, v3, 0, s[0:1]
	v_add_u32_e32 v24, v23, v0
	v_add_u32_e32 v0, v24, v1
	;; [unrolled: 1-line block ×3, first 2 shown]
	ds_write2_b64 v13, v[23:24], v[0:1] offset0:8 offset1:9
	s_waitcnt lgkmcnt(0)
	s_barrier
	ds_read_b32 v0, v22 offset:64
	v_lshlrev_b32_e32 v1, 1, v7
	s_waitcnt lgkmcnt(0)
	v_lshl_add_u32 v0, v0, 1, v1
                                        ; implicit-def: $vgpr1
	s_cbranch_scc1 .LBB22_2
; %bb.12:                               ;   in Loop: Header=BB22_3 Depth=1
	s_barrier
	ds_write_b16 v0, v21
	s_waitcnt lgkmcnt(0)
	s_barrier
	ds_read_u16 v1, v18
	s_add_i32 s24, s24, -8
	s_mov_b64 s[22:23], 0
	s_waitcnt lgkmcnt(0)
	s_barrier
	s_branch .LBB22_2
.LBB22_13:
	s_mov_b64 s[24:25], 0
	s_barrier
	ds_write_b16 v0, v21
	s_waitcnt lgkmcnt(0)
	s_barrier
.LBB22_14:
	s_and_b64 vcc, exec, s[24:25]
	s_cbranch_vccz .LBB22_32
; %bb.15:
	s_mov_b32 s22, 0
	s_mov_b32 s24, s22
	;; [unrolled: 1-line block ×4, first 2 shown]
	v_mov_b32_e32 v0, s22
	v_mov_b32_e32 v2, s24
	;; [unrolled: 1-line block ×4, first 2 shown]
	ds_write2_b64 v13, v[0:1], v[2:3] offset0:8 offset1:9
	v_and_b32_e32 v1, 1, v20
	v_add_co_u32_e32 v2, vcc, -1, v1
	v_mov_b32_e32 v0, 4
	v_addc_co_u32_e64 v3, s[22:23], 0, -1, vcc
	v_cmp_ne_u32_e32 vcc, 0, v1
	v_lshlrev_b16_sdwa v0, v0, v20 dst_sel:DWORD dst_unused:UNUSED_PAD src0_sel:DWORD src1_sel:BYTE_0
	v_xor_b32_e32 v1, vcc_hi, v3
	v_lshl_add_u32 v7, v0, 2, v19
	v_mov_b32_e32 v0, 0
	v_and_b32_e32 v3, exec_hi, v1
	v_lshlrev_b32_e32 v1, 30, v20
	v_xor_b32_e32 v2, vcc_lo, v2
	v_cmp_gt_i64_e32 vcc, 0, v[0:1]
	v_not_b32_e32 v1, v1
	v_ashrrev_i32_e32 v1, 31, v1
	v_and_b32_e32 v2, exec_lo, v2
	v_xor_b32_e32 v6, vcc_hi, v1
	v_xor_b32_e32 v1, vcc_lo, v1
	v_and_b32_e32 v2, v2, v1
	v_lshlrev_b32_e32 v1, 29, v20
	v_cmp_gt_i64_e32 vcc, 0, v[0:1]
	v_not_b32_e32 v1, v1
	v_ashrrev_i32_e32 v1, 31, v1
	v_and_b32_e32 v3, v3, v6
	v_xor_b32_e32 v6, vcc_hi, v1
	v_xor_b32_e32 v1, vcc_lo, v1
	v_and_b32_e32 v2, v2, v1
	v_lshlrev_b32_e32 v1, 28, v20
	v_cmp_gt_i64_e32 vcc, 0, v[0:1]
	v_not_b32_e32 v1, v1
	v_ashrrev_i32_e32 v1, 31, v1
	v_and_b32_e32 v3, v3, v6
	;; [unrolled: 8-line block ×5, first 2 shown]
	v_xor_b32_e32 v6, vcc_hi, v1
	v_xor_b32_e32 v1, vcc_lo, v1
	v_and_b32_e32 v2, v2, v1
	v_lshlrev_b32_e32 v1, 24, v20
	v_cmp_gt_i64_e32 vcc, 0, v[0:1]
	v_not_b32_e32 v0, v1
	v_ashrrev_i32_e32 v0, 31, v0
	v_xor_b32_e32 v1, vcc_hi, v0
	v_xor_b32_e32 v0, vcc_lo, v0
	v_and_b32_e32 v3, v3, v6
	v_and_b32_e32 v0, v2, v0
	;; [unrolled: 1-line block ×3, first 2 shown]
	v_mbcnt_lo_u32_b32 v2, v0, 0
	v_mbcnt_hi_u32_b32 v8, v1, v2
	v_cmp_ne_u64_e32 vcc, 0, v[0:1]
	v_cmp_eq_u32_e64 s[22:23], 0, v8
	s_and_b64 s[24:25], vcc, s[22:23]
	s_waitcnt lgkmcnt(0)
	s_barrier
	; wave barrier
	s_and_saveexec_b64 s[22:23], s[24:25]
; %bb.16:
	v_bcnt_u32_b32 v0, v0, 0
	v_bcnt_u32_b32 v0, v1, v0
	ds_write_b32 v7, v0 offset:64
; %bb.17:
	s_or_b64 exec, exec, s[22:23]
	; wave barrier
	s_waitcnt lgkmcnt(0)
	s_barrier
	ds_read2_b64 v[0:3], v13 offset0:8 offset1:9
	s_waitcnt lgkmcnt(0)
	v_add_u32_e32 v6, v1, v0
	v_add3_u32 v3, v6, v2, v3
	s_nop 1
	v_mov_b32_dpp v6, v3 row_shr:1 row_mask:0xf bank_mask:0xf
	v_cndmask_b32_e64 v6, v6, 0, s[14:15]
	v_add_u32_e32 v3, v6, v3
	s_nop 1
	v_mov_b32_dpp v6, v3 row_shr:2 row_mask:0xf bank_mask:0xf
	v_cndmask_b32_e64 v6, 0, v6, s[12:13]
	v_add_u32_e32 v3, v3, v6
	;; [unrolled: 4-line block ×4, first 2 shown]
	s_nop 1
	v_mov_b32_dpp v6, v3 row_bcast:15 row_mask:0xf bank_mask:0xf
	v_cndmask_b32_e64 v6, v6, 0, s[20:21]
	v_add_u32_e32 v3, v3, v6
	s_nop 1
	v_mov_b32_dpp v6, v3 row_bcast:31 row_mask:0xf bank_mask:0xf
	v_cndmask_b32_e64 v6, 0, v6, s[18:19]
	v_add_u32_e32 v3, v3, v6
	s_and_saveexec_b64 s[22:23], s[16:17]
; %bb.18:
	ds_write_b32 v17, v3
; %bb.19:
	s_or_b64 exec, exec, s[22:23]
	s_waitcnt lgkmcnt(0)
	s_barrier
	s_and_saveexec_b64 s[22:23], s[6:7]
	s_cbranch_execz .LBB22_21
; %bb.20:
	ds_read_b32 v6, v16
	s_waitcnt lgkmcnt(0)
	s_nop 0
	v_mov_b32_dpp v9, v6 row_shr:1 row_mask:0xf bank_mask:0xf
	v_cndmask_b32_e64 v9, v9, 0, s[14:15]
	v_add_u32_e32 v6, v9, v6
	s_nop 1
	v_mov_b32_dpp v9, v6 row_shr:2 row_mask:0xf bank_mask:0xf
	v_cndmask_b32_e64 v9, 0, v9, s[12:13]
	v_add_u32_e32 v6, v6, v9
	;; [unrolled: 4-line block ×4, first 2 shown]
	ds_write_b32 v16, v6
.LBB22_21:
	s_or_b64 exec, exec, s[22:23]
	v_mov_b32_e32 v6, 0
	v_mov_b32_e32 v9, 0
	s_waitcnt lgkmcnt(0)
	s_barrier
	s_and_saveexec_b64 s[22:23], s[4:5]
; %bb.22:
	ds_read_b32 v9, v15
; %bb.23:
	s_or_b64 exec, exec, s[22:23]
	s_waitcnt lgkmcnt(0)
	v_add_u32_e32 v3, v9, v3
	ds_bpermute_b32 v3, v14, v3
	s_mov_b32 s22, 0
	s_mov_b32 s24, s22
	;; [unrolled: 1-line block ×4, first 2 shown]
	s_waitcnt lgkmcnt(0)
	v_cndmask_b32_e64 v3, v3, v9, s[2:3]
	v_cndmask_b32_e64 v9, v3, 0, s[0:1]
	v_add_u32_e32 v10, v9, v0
	v_add_u32_e32 v0, v10, v1
	;; [unrolled: 1-line block ×3, first 2 shown]
	ds_write2_b64 v13, v[9:10], v[0:1] offset0:8 offset1:9
	s_waitcnt lgkmcnt(0)
	s_barrier
	ds_read_b32 v0, v7 offset:64
	v_lshlrev_b32_e32 v1, 1, v8
	s_waitcnt lgkmcnt(0)
	s_barrier
	v_lshl_add_u32 v0, v0, 1, v1
	ds_write_b16 v0, v20
	s_waitcnt lgkmcnt(0)
	s_barrier
	ds_read_u16 v8, v18
	v_mov_b32_e32 v0, s22
	v_mov_b32_e32 v2, s24
	;; [unrolled: 1-line block ×4, first 2 shown]
	s_waitcnt lgkmcnt(0)
	s_barrier
	ds_write2_b64 v13, v[0:1], v[2:3] offset0:8 offset1:9
	v_mov_b32_e32 v0, 4
	v_lshlrev_b16_sdwa v0, v0, v8 dst_sel:DWORD dst_unused:UNUSED_PAD src0_sel:DWORD src1_sel:BYTE_1
	v_lshl_add_u32 v9, v0, 2, v19
	v_mov_b32_e32 v0, 1
	v_and_b32_sdwa v0, v8, v0 dst_sel:DWORD dst_unused:UNUSED_PAD src0_sel:BYTE_1 src1_sel:DWORD
	v_add_co_u32_e32 v1, vcc, -1, v0
	v_addc_co_u32_e64 v2, s[22:23], 0, -1, vcc
	v_cmp_ne_u32_e32 vcc, 0, v0
	v_xor_b32_e32 v0, vcc_hi, v2
	v_mov_b32_e32 v2, 30
	v_lshlrev_b32_sdwa v7, v2, v8 dst_sel:DWORD dst_unused:UNUSED_PAD src0_sel:DWORD src1_sel:BYTE_1
	v_xor_b32_e32 v1, vcc_lo, v1
	v_cmp_gt_i64_e32 vcc, 0, v[6:7]
	v_not_b32_e32 v2, v7
	v_ashrrev_i32_e32 v2, 31, v2
	v_and_b32_e32 v1, exec_lo, v1
	v_xor_b32_e32 v3, vcc_hi, v2
	v_xor_b32_e32 v2, vcc_lo, v2
	v_and_b32_e32 v1, v1, v2
	v_mov_b32_e32 v2, 29
	v_lshlrev_b32_sdwa v7, v2, v8 dst_sel:DWORD dst_unused:UNUSED_PAD src0_sel:DWORD src1_sel:BYTE_1
	v_cmp_gt_i64_e32 vcc, 0, v[6:7]
	v_not_b32_e32 v2, v7
	v_and_b32_e32 v0, exec_hi, v0
	v_ashrrev_i32_e32 v2, 31, v2
	v_and_b32_e32 v0, v0, v3
	v_xor_b32_e32 v3, vcc_hi, v2
	v_xor_b32_e32 v2, vcc_lo, v2
	v_and_b32_e32 v1, v1, v2
	v_mov_b32_e32 v2, 28
	v_lshlrev_b32_sdwa v7, v2, v8 dst_sel:DWORD dst_unused:UNUSED_PAD src0_sel:DWORD src1_sel:BYTE_1
	v_cmp_gt_i64_e32 vcc, 0, v[6:7]
	v_not_b32_e32 v2, v7
	v_ashrrev_i32_e32 v2, 31, v2
	v_and_b32_e32 v0, v0, v3
	v_xor_b32_e32 v3, vcc_hi, v2
	v_xor_b32_e32 v2, vcc_lo, v2
	v_and_b32_e32 v1, v1, v2
	v_mov_b32_e32 v2, 27
	v_lshlrev_b32_sdwa v7, v2, v8 dst_sel:DWORD dst_unused:UNUSED_PAD src0_sel:DWORD src1_sel:BYTE_1
	v_cmp_gt_i64_e32 vcc, 0, v[6:7]
	v_not_b32_e32 v2, v7
	;; [unrolled: 9-line block ×5, first 2 shown]
	v_ashrrev_i32_e32 v1, 31, v1
	v_and_b32_e32 v0, v0, v3
	v_xor_b32_e32 v3, vcc_hi, v1
	v_xor_b32_e32 v6, vcc_lo, v1
	v_and_b32_e32 v1, v0, v3
	v_and_b32_e32 v0, v2, v6
	v_mbcnt_lo_u32_b32 v2, v0, 0
	v_mbcnt_hi_u32_b32 v6, v1, v2
	v_cmp_ne_u64_e32 vcc, 0, v[0:1]
	v_cmp_eq_u32_e64 s[22:23], 0, v6
	s_and_b64 s[24:25], vcc, s[22:23]
	s_waitcnt lgkmcnt(0)
	s_barrier
	; wave barrier
	s_and_saveexec_b64 s[22:23], s[24:25]
; %bb.24:
	v_bcnt_u32_b32 v0, v0, 0
	v_bcnt_u32_b32 v0, v1, v0
	ds_write_b32 v9, v0 offset:64
; %bb.25:
	s_or_b64 exec, exec, s[22:23]
	; wave barrier
	s_waitcnt lgkmcnt(0)
	s_barrier
	ds_read2_b64 v[0:3], v13 offset0:8 offset1:9
	s_waitcnt lgkmcnt(0)
	v_add_u32_e32 v7, v1, v0
	v_add3_u32 v3, v7, v2, v3
	s_nop 1
	v_mov_b32_dpp v7, v3 row_shr:1 row_mask:0xf bank_mask:0xf
	v_cndmask_b32_e64 v7, v7, 0, s[14:15]
	v_add_u32_e32 v3, v7, v3
	s_nop 1
	v_mov_b32_dpp v7, v3 row_shr:2 row_mask:0xf bank_mask:0xf
	v_cndmask_b32_e64 v7, 0, v7, s[12:13]
	v_add_u32_e32 v3, v3, v7
	;; [unrolled: 4-line block ×4, first 2 shown]
	s_nop 1
	v_mov_b32_dpp v7, v3 row_bcast:15 row_mask:0xf bank_mask:0xf
	v_cndmask_b32_e64 v7, v7, 0, s[20:21]
	v_add_u32_e32 v3, v3, v7
	s_nop 1
	v_mov_b32_dpp v7, v3 row_bcast:31 row_mask:0xf bank_mask:0xf
	v_cndmask_b32_e64 v7, 0, v7, s[18:19]
	v_add_u32_e32 v3, v3, v7
	s_and_saveexec_b64 s[18:19], s[16:17]
; %bb.26:
	ds_write_b32 v17, v3
; %bb.27:
	s_or_b64 exec, exec, s[18:19]
	s_waitcnt lgkmcnt(0)
	s_barrier
	s_and_saveexec_b64 s[16:17], s[6:7]
	s_cbranch_execz .LBB22_29
; %bb.28:
	ds_read_b32 v7, v16
	s_waitcnt lgkmcnt(0)
	s_nop 0
	v_mov_b32_dpp v10, v7 row_shr:1 row_mask:0xf bank_mask:0xf
	v_cndmask_b32_e64 v10, v10, 0, s[14:15]
	v_add_u32_e32 v7, v10, v7
	s_nop 1
	v_mov_b32_dpp v10, v7 row_shr:2 row_mask:0xf bank_mask:0xf
	v_cndmask_b32_e64 v10, 0, v10, s[12:13]
	v_add_u32_e32 v7, v7, v10
	;; [unrolled: 4-line block ×4, first 2 shown]
	ds_write_b32 v16, v7
.LBB22_29:
	s_or_b64 exec, exec, s[16:17]
	v_mov_b32_e32 v7, 0
	s_waitcnt lgkmcnt(0)
	s_barrier
	s_and_saveexec_b64 s[6:7], s[4:5]
; %bb.30:
	ds_read_b32 v7, v15
; %bb.31:
	s_or_b64 exec, exec, s[6:7]
	s_waitcnt lgkmcnt(0)
	v_add_u32_e32 v3, v7, v3
	ds_bpermute_b32 v3, v14, v3
	s_waitcnt lgkmcnt(0)
	v_cndmask_b32_e64 v3, v3, v7, s[2:3]
	v_cndmask_b32_e64 v10, v3, 0, s[0:1]
	v_add_u32_e32 v11, v10, v0
	v_add_u32_e32 v0, v11, v1
	;; [unrolled: 1-line block ×3, first 2 shown]
	ds_write2_b64 v13, v[10:11], v[0:1] offset0:8 offset1:9
	s_waitcnt lgkmcnt(0)
	s_barrier
	ds_read_b32 v0, v9 offset:64
	v_lshlrev_b32_e32 v1, 1, v6
	s_waitcnt lgkmcnt(0)
	s_barrier
	v_lshl_add_u32 v0, v0, 1, v1
	ds_write_b16 v0, v8
	s_waitcnt lgkmcnt(0)
	s_barrier
.LBB22_32:
	ds_read_u16 v0, v12
	s_waitcnt lgkmcnt(0)
	v_xor_b32_e32 v0, -1, v0
	global_store_short v[4:5], v0, off
	s_endpgm
	.section	.rodata,"a",@progbits
	.p2align	6, 0x0
	.amdhsa_kernel _Z15sort_key_kernelILj1024ELj1ELb0ELb1EtEvPT3_jj
		.amdhsa_group_segment_fixed_size 16448
		.amdhsa_private_segment_fixed_size 0
		.amdhsa_kernarg_size 272
		.amdhsa_user_sgpr_count 6
		.amdhsa_user_sgpr_private_segment_buffer 1
		.amdhsa_user_sgpr_dispatch_ptr 0
		.amdhsa_user_sgpr_queue_ptr 0
		.amdhsa_user_sgpr_kernarg_segment_ptr 1
		.amdhsa_user_sgpr_dispatch_id 0
		.amdhsa_user_sgpr_flat_scratch_init 0
		.amdhsa_user_sgpr_private_segment_size 0
		.amdhsa_uses_dynamic_stack 0
		.amdhsa_system_sgpr_private_segment_wavefront_offset 0
		.amdhsa_system_sgpr_workgroup_id_x 1
		.amdhsa_system_sgpr_workgroup_id_y 0
		.amdhsa_system_sgpr_workgroup_id_z 0
		.amdhsa_system_sgpr_workgroup_info 0
		.amdhsa_system_vgpr_workitem_id 2
		.amdhsa_next_free_vgpr 29
		.amdhsa_next_free_sgpr 61
		.amdhsa_reserve_vcc 1
		.amdhsa_reserve_flat_scratch 0
		.amdhsa_float_round_mode_32 0
		.amdhsa_float_round_mode_16_64 0
		.amdhsa_float_denorm_mode_32 3
		.amdhsa_float_denorm_mode_16_64 3
		.amdhsa_dx10_clamp 1
		.amdhsa_ieee_mode 1
		.amdhsa_fp16_overflow 0
		.amdhsa_exception_fp_ieee_invalid_op 0
		.amdhsa_exception_fp_denorm_src 0
		.amdhsa_exception_fp_ieee_div_zero 0
		.amdhsa_exception_fp_ieee_overflow 0
		.amdhsa_exception_fp_ieee_underflow 0
		.amdhsa_exception_fp_ieee_inexact 0
		.amdhsa_exception_int_div_zero 0
	.end_amdhsa_kernel
	.section	.text._Z15sort_key_kernelILj1024ELj1ELb0ELb1EtEvPT3_jj,"axG",@progbits,_Z15sort_key_kernelILj1024ELj1ELb0ELb1EtEvPT3_jj,comdat
.Lfunc_end22:
	.size	_Z15sort_key_kernelILj1024ELj1ELb0ELb1EtEvPT3_jj, .Lfunc_end22-_Z15sort_key_kernelILj1024ELj1ELb0ELb1EtEvPT3_jj
                                        ; -- End function
	.set _Z15sort_key_kernelILj1024ELj1ELb0ELb1EtEvPT3_jj.num_vgpr, 25
	.set _Z15sort_key_kernelILj1024ELj1ELb0ELb1EtEvPT3_jj.num_agpr, 0
	.set _Z15sort_key_kernelILj1024ELj1ELb0ELb1EtEvPT3_jj.numbered_sgpr, 38
	.set _Z15sort_key_kernelILj1024ELj1ELb0ELb1EtEvPT3_jj.num_named_barrier, 0
	.set _Z15sort_key_kernelILj1024ELj1ELb0ELb1EtEvPT3_jj.private_seg_size, 0
	.set _Z15sort_key_kernelILj1024ELj1ELb0ELb1EtEvPT3_jj.uses_vcc, 1
	.set _Z15sort_key_kernelILj1024ELj1ELb0ELb1EtEvPT3_jj.uses_flat_scratch, 0
	.set _Z15sort_key_kernelILj1024ELj1ELb0ELb1EtEvPT3_jj.has_dyn_sized_stack, 0
	.set _Z15sort_key_kernelILj1024ELj1ELb0ELb1EtEvPT3_jj.has_recursion, 0
	.set _Z15sort_key_kernelILj1024ELj1ELb0ELb1EtEvPT3_jj.has_indirect_call, 0
	.section	.AMDGPU.csdata,"",@progbits
; Kernel info:
; codeLenInByte = 3108
; TotalNumSgprs: 42
; NumVgprs: 25
; ScratchSize: 0
; MemoryBound: 0
; FloatMode: 240
; IeeeMode: 1
; LDSByteSize: 16448 bytes/workgroup (compile time only)
; SGPRBlocks: 8
; VGPRBlocks: 7
; NumSGPRsForWavesPerEU: 65
; NumVGPRsForWavesPerEU: 29
; Occupancy: 8
; WaveLimiterHint : 0
; COMPUTE_PGM_RSRC2:SCRATCH_EN: 0
; COMPUTE_PGM_RSRC2:USER_SGPR: 6
; COMPUTE_PGM_RSRC2:TRAP_HANDLER: 0
; COMPUTE_PGM_RSRC2:TGID_X_EN: 1
; COMPUTE_PGM_RSRC2:TGID_Y_EN: 0
; COMPUTE_PGM_RSRC2:TGID_Z_EN: 0
; COMPUTE_PGM_RSRC2:TIDIG_COMP_CNT: 2
	.section	.text._Z15sort_key_kernelILj256ELj1ELb0ELb0EjEvPT3_jj,"axG",@progbits,_Z15sort_key_kernelILj256ELj1ELb0ELb0EjEvPT3_jj,comdat
	.protected	_Z15sort_key_kernelILj256ELj1ELb0ELb0EjEvPT3_jj ; -- Begin function _Z15sort_key_kernelILj256ELj1ELb0ELb0EjEvPT3_jj
	.globl	_Z15sort_key_kernelILj256ELj1ELb0ELb0EjEvPT3_jj
	.p2align	8
	.type	_Z15sort_key_kernelILj256ELj1ELb0ELb0EjEvPT3_jj,@function
_Z15sort_key_kernelILj256ELj1ELb0ELb0EjEvPT3_jj: ; @_Z15sort_key_kernelILj256ELj1ELb0ELb0EjEvPT3_jj
; %bb.0:
	s_load_dwordx4 s[28:31], s[4:5], 0x0
	s_load_dword s7, s[4:5], 0x1c
	s_lshl_b32 s26, s6, 8
	s_mov_b32 s27, 0
	s_lshl_b64 s[0:1], s[26:27], 2
	s_waitcnt lgkmcnt(0)
	s_add_u32 s0, s28, s0
	s_addc_u32 s1, s29, s1
	v_lshlrev_b32_e32 v3, 2, v0
	global_load_dword v19, v3, s[0:1]
	s_cmp_eq_u32 s30, 0
	v_mov_b32_e32 v5, s1
	v_add_co_u32_e32 v4, vcc, s0, v3
	s_cselect_b64 s[0:1], -1, 0
	s_cmp_eq_u32 s31, 32
	s_cselect_b64 s[2:3], -1, 0
	s_and_b64 s[34:35], s[0:1], s[2:3]
	s_lshr_b32 s0, s7, 16
	s_and_b32 s1, s7, 0xffff
	v_mad_u32_u24 v1, v2, s0, v1
	v_mad_u64_u32 v[1:2], s[0:1], v1, s1, v[0:1]
	v_mbcnt_lo_u32_b32 v2, -1, 0
	v_mbcnt_hi_u32_b32 v2, -1, v2
	v_and_b32_e32 v3, 15, v2
	v_cmp_eq_u32_e64 s[24:25], 0, v3
	v_cmp_lt_u32_e64 s[22:23], 1, v3
	v_cmp_lt_u32_e64 s[20:21], 3, v3
	;; [unrolled: 1-line block ×3, first 2 shown]
	v_and_b32_e32 v3, 16, v2
	v_cmp_eq_u32_e64 s[16:17], 0, v3
	v_and_b32_e32 v3, 0xc0, v0
	v_or_b32_e32 v7, 63, v3
	v_addc_co_u32_e32 v5, vcc, 0, v5, vcc
	v_cmp_eq_u32_e64 s[14:15], v0, v7
	v_subrev_co_u32_e64 v7, s[0:1], 1, v2
	v_and_b32_e32 v8, 64, v2
	v_cmp_lt_i32_e32 vcc, v7, v8
	v_cndmask_b32_e32 v7, v7, v2, vcc
	v_lshlrev_b32_e32 v14, 2, v7
	v_lshrrev_b32_e32 v7, 4, v0
	v_lshlrev_b32_e32 v12, 4, v0
	v_cmp_gt_u32_e64 s[6:7], 4, v0
	v_cmp_lt_u32_e64 s[4:5], 63, v0
	v_cmp_eq_u32_e64 s[2:3], 0, v0
	v_and_b32_e32 v16, 12, v7
	v_mul_i32_i24_e32 v0, -12, v0
	v_and_b32_e32 v7, 3, v2
	v_lshlrev_b32_e32 v3, 2, v3
	v_lshrrev_b32_e32 v1, 4, v1
	v_mov_b32_e32 v6, 0
	v_cmp_lt_u32_e64 s[12:13], 31, v2
	v_cmp_eq_u32_e64 s[10:11], 0, v7
	v_cmp_lt_u32_e64 s[8:9], 1, v7
	v_add_u32_e32 v15, -4, v16
	v_lshl_add_u32 v18, v2, 2, v3
	v_and_b32_e32 v17, 0xffffffc, v1
	s_mov_b64 s[28:29], -1
	s_and_b64 vcc, exec, s[34:35]
	v_add_u32_e32 v13, v12, v0
	s_cbranch_vccz .LBB23_3
; %bb.1:
	s_and_b64 vcc, exec, s[28:29]
	s_cbranch_vccnz .LBB23_16
.LBB23_2:
	ds_read_b32 v0, v13
	s_waitcnt lgkmcnt(0)
	global_store_dword v[4:5], v0, off
	s_endpgm
.LBB23_3:
	s_sub_i32 s26, s31, s30
	v_mov_b32_e32 v20, s26
	s_mov_b32 s26, s27
	s_mov_b32 s28, s27
	;; [unrolled: 1-line block ×3, first 2 shown]
	v_mov_b32_e32 v8, s26
	v_mov_b32_e32 v10, s28
	;; [unrolled: 1-line block ×4, first 2 shown]
	s_waitcnt vmcnt(0)
	v_mov_b32_e32 v1, v19
	s_branch .LBB23_5
.LBB23_4:                               ;   in Loop: Header=BB23_5 Depth=1
	s_andn2_b64 vcc, exec, s[26:27]
	s_cbranch_vccz .LBB23_15
.LBB23_5:                               ; =>This Inner Loop Header: Depth=1
	v_mov_b32_e32 v21, v1
	v_min_u32_e32 v0, 8, v20
	v_lshrrev_b32_e32 v1, s30, v21
	v_bfe_u32 v0, v1, 0, v0
	v_and_b32_e32 v1, 1, v0
	v_add_co_u32_e32 v3, vcc, -1, v1
	v_addc_co_u32_e64 v7, s[26:27], 0, -1, vcc
	v_cmp_ne_u32_e32 vcc, 0, v1
	v_xor_b32_e32 v1, vcc_hi, v7
	v_lshlrev_b32_e32 v7, 30, v0
	v_xor_b32_e32 v3, vcc_lo, v3
	v_cmp_gt_i64_e32 vcc, 0, v[6:7]
	v_not_b32_e32 v7, v7
	v_ashrrev_i32_e32 v7, 31, v7
	v_and_b32_e32 v3, exec_lo, v3
	v_xor_b32_e32 v22, vcc_hi, v7
	v_xor_b32_e32 v7, vcc_lo, v7
	v_and_b32_e32 v3, v3, v7
	v_lshlrev_b32_e32 v7, 29, v0
	v_cmp_gt_i64_e32 vcc, 0, v[6:7]
	v_not_b32_e32 v7, v7
	v_and_b32_e32 v1, exec_hi, v1
	v_ashrrev_i32_e32 v7, 31, v7
	v_and_b32_e32 v1, v1, v22
	v_xor_b32_e32 v22, vcc_hi, v7
	v_xor_b32_e32 v7, vcc_lo, v7
	v_and_b32_e32 v3, v3, v7
	v_lshlrev_b32_e32 v7, 28, v0
	v_cmp_gt_i64_e32 vcc, 0, v[6:7]
	v_not_b32_e32 v7, v7
	v_ashrrev_i32_e32 v7, 31, v7
	v_and_b32_e32 v1, v1, v22
	v_xor_b32_e32 v22, vcc_hi, v7
	v_xor_b32_e32 v7, vcc_lo, v7
	v_and_b32_e32 v3, v3, v7
	v_lshlrev_b32_e32 v7, 27, v0
	v_cmp_gt_i64_e32 vcc, 0, v[6:7]
	v_not_b32_e32 v7, v7
	;; [unrolled: 8-line block ×4, first 2 shown]
	v_ashrrev_i32_e32 v7, 31, v7
	v_and_b32_e32 v1, v1, v22
	v_xor_b32_e32 v22, vcc_hi, v7
	v_xor_b32_e32 v7, vcc_lo, v7
	v_and_b32_e32 v3, v3, v7
	v_lshlrev_b32_e32 v7, 24, v0
	v_lshlrev_b32_e32 v2, 4, v0
	v_cmp_gt_i64_e32 vcc, 0, v[6:7]
	v_not_b32_e32 v0, v7
	v_ashrrev_i32_e32 v0, 31, v0
	v_xor_b32_e32 v7, vcc_hi, v0
	v_xor_b32_e32 v0, vcc_lo, v0
	v_and_b32_e32 v1, v1, v22
	v_and_b32_e32 v0, v3, v0
	v_and_b32_e32 v1, v1, v7
	v_mbcnt_lo_u32_b32 v3, v0, 0
	v_mbcnt_hi_u32_b32 v7, v1, v3
	v_cmp_ne_u64_e32 vcc, 0, v[0:1]
	v_cmp_eq_u32_e64 s[26:27], 0, v7
	s_and_b64 s[28:29], vcc, s[26:27]
	v_add_u32_e32 v22, v17, v2
	ds_write2_b64 v12, v[8:9], v[10:11] offset0:2 offset1:3
	s_waitcnt lgkmcnt(0)
	s_barrier
	; wave barrier
	s_and_saveexec_b64 s[26:27], s[28:29]
; %bb.6:                                ;   in Loop: Header=BB23_5 Depth=1
	v_bcnt_u32_b32 v0, v0, 0
	v_bcnt_u32_b32 v0, v1, v0
	ds_write_b32 v22, v0 offset:16
; %bb.7:                                ;   in Loop: Header=BB23_5 Depth=1
	s_or_b64 exec, exec, s[26:27]
	; wave barrier
	s_waitcnt lgkmcnt(0)
	s_barrier
	ds_read2_b64 v[0:3], v12 offset0:2 offset1:3
	s_waitcnt lgkmcnt(0)
	v_add_u32_e32 v23, v1, v0
	v_add3_u32 v3, v23, v2, v3
	s_nop 1
	v_mov_b32_dpp v23, v3 row_shr:1 row_mask:0xf bank_mask:0xf
	v_cndmask_b32_e64 v23, v23, 0, s[24:25]
	v_add_u32_e32 v3, v23, v3
	s_nop 1
	v_mov_b32_dpp v23, v3 row_shr:2 row_mask:0xf bank_mask:0xf
	v_cndmask_b32_e64 v23, 0, v23, s[22:23]
	v_add_u32_e32 v3, v3, v23
	s_nop 1
	v_mov_b32_dpp v23, v3 row_shr:4 row_mask:0xf bank_mask:0xf
	v_cndmask_b32_e64 v23, 0, v23, s[20:21]
	v_add_u32_e32 v3, v3, v23
	s_nop 1
	v_mov_b32_dpp v23, v3 row_shr:8 row_mask:0xf bank_mask:0xf
	v_cndmask_b32_e64 v23, 0, v23, s[18:19]
	v_add_u32_e32 v3, v3, v23
	s_nop 1
	v_mov_b32_dpp v23, v3 row_bcast:15 row_mask:0xf bank_mask:0xf
	v_cndmask_b32_e64 v23, v23, 0, s[16:17]
	v_add_u32_e32 v3, v3, v23
	s_nop 1
	v_mov_b32_dpp v23, v3 row_bcast:31 row_mask:0xf bank_mask:0xf
	v_cndmask_b32_e64 v23, 0, v23, s[12:13]
	v_add_u32_e32 v3, v3, v23
	s_and_saveexec_b64 s[26:27], s[14:15]
; %bb.8:                                ;   in Loop: Header=BB23_5 Depth=1
	ds_write_b32 v16, v3
; %bb.9:                                ;   in Loop: Header=BB23_5 Depth=1
	s_or_b64 exec, exec, s[26:27]
	s_waitcnt lgkmcnt(0)
	s_barrier
	s_and_saveexec_b64 s[26:27], s[6:7]
	s_cbranch_execz .LBB23_11
; %bb.10:                               ;   in Loop: Header=BB23_5 Depth=1
	ds_read_b32 v23, v13
	s_waitcnt lgkmcnt(0)
	s_nop 0
	v_mov_b32_dpp v24, v23 row_shr:1 row_mask:0xf bank_mask:0xf
	v_cndmask_b32_e64 v24, v24, 0, s[10:11]
	v_add_u32_e32 v23, v24, v23
	s_nop 1
	v_mov_b32_dpp v24, v23 row_shr:2 row_mask:0xf bank_mask:0xf
	v_cndmask_b32_e64 v24, 0, v24, s[8:9]
	v_add_u32_e32 v23, v23, v24
	ds_write_b32 v13, v23
.LBB23_11:                              ;   in Loop: Header=BB23_5 Depth=1
	s_or_b64 exec, exec, s[26:27]
	v_mov_b32_e32 v23, 0
	s_waitcnt lgkmcnt(0)
	s_barrier
	s_and_saveexec_b64 s[26:27], s[4:5]
; %bb.12:                               ;   in Loop: Header=BB23_5 Depth=1
	ds_read_b32 v23, v15
; %bb.13:                               ;   in Loop: Header=BB23_5 Depth=1
	s_or_b64 exec, exec, s[26:27]
	s_waitcnt lgkmcnt(0)
	v_add_u32_e32 v3, v23, v3
	ds_bpermute_b32 v3, v14, v3
	s_add_i32 s30, s30, 8
	s_cmp_ge_u32 s30, s31
	s_mov_b64 s[26:27], -1
	s_waitcnt lgkmcnt(0)
	v_cndmask_b32_e64 v3, v3, v23, s[0:1]
	v_cndmask_b32_e64 v23, v3, 0, s[2:3]
	v_add_u32_e32 v24, v23, v0
	v_add_u32_e32 v0, v24, v1
	;; [unrolled: 1-line block ×3, first 2 shown]
	ds_write2_b64 v12, v[23:24], v[0:1] offset0:2 offset1:3
	s_waitcnt lgkmcnt(0)
	s_barrier
	ds_read_b32 v0, v22 offset:16
	v_lshlrev_b32_e32 v1, 2, v7
	s_waitcnt lgkmcnt(0)
	v_lshl_add_u32 v0, v0, 2, v1
                                        ; implicit-def: $vgpr1
	s_cbranch_scc1 .LBB23_4
; %bb.14:                               ;   in Loop: Header=BB23_5 Depth=1
	s_barrier
	ds_write_b32 v0, v21
	s_waitcnt lgkmcnt(0)
	s_barrier
	ds_read_b32 v1, v18
	v_add_u32_e32 v20, -8, v20
	s_mov_b64 s[26:27], 0
	s_waitcnt lgkmcnt(0)
	s_barrier
	s_branch .LBB23_4
.LBB23_15:
	s_barrier
	ds_write_b32 v0, v21
	s_waitcnt lgkmcnt(0)
	s_barrier
	s_branch .LBB23_2
.LBB23_16:
	s_mov_b32 s26, 0
	s_mov_b32 s28, s26
	;; [unrolled: 1-line block ×4, first 2 shown]
	v_mov_b32_e32 v0, s26
	v_mov_b32_e32 v2, s28
	;; [unrolled: 1-line block ×4, first 2 shown]
	ds_write2_b64 v12, v[0:1], v[2:3] offset0:2 offset1:3
	s_waitcnt vmcnt(0)
	v_and_b32_e32 v1, 1, v19
	v_add_co_u32_e32 v3, vcc, -1, v1
	v_addc_co_u32_e64 v6, s[26:27], 0, -1, vcc
	v_cmp_ne_u32_e32 vcc, 0, v1
	v_mov_b32_e32 v0, 4
	v_xor_b32_e32 v1, vcc_hi, v6
	v_lshlrev_b32_sdwa v2, v0, v19 dst_sel:DWORD dst_unused:UNUSED_PAD src0_sel:DWORD src1_sel:BYTE_0
	v_mov_b32_e32 v0, 0
	v_and_b32_e32 v6, exec_hi, v1
	v_lshlrev_b32_e32 v1, 30, v19
	v_xor_b32_e32 v3, vcc_lo, v3
	v_cmp_gt_i64_e32 vcc, 0, v[0:1]
	v_not_b32_e32 v1, v1
	v_ashrrev_i32_e32 v1, 31, v1
	v_and_b32_e32 v3, exec_lo, v3
	v_xor_b32_e32 v7, vcc_hi, v1
	v_xor_b32_e32 v1, vcc_lo, v1
	v_and_b32_e32 v3, v3, v1
	v_lshlrev_b32_e32 v1, 29, v19
	v_cmp_gt_i64_e32 vcc, 0, v[0:1]
	v_not_b32_e32 v1, v1
	v_ashrrev_i32_e32 v1, 31, v1
	v_and_b32_e32 v6, v6, v7
	v_xor_b32_e32 v7, vcc_hi, v1
	v_xor_b32_e32 v1, vcc_lo, v1
	v_and_b32_e32 v3, v3, v1
	v_lshlrev_b32_e32 v1, 28, v19
	v_cmp_gt_i64_e32 vcc, 0, v[0:1]
	v_not_b32_e32 v1, v1
	v_ashrrev_i32_e32 v1, 31, v1
	v_and_b32_e32 v6, v6, v7
	;; [unrolled: 8-line block ×5, first 2 shown]
	v_xor_b32_e32 v7, vcc_hi, v1
	v_xor_b32_e32 v1, vcc_lo, v1
	v_and_b32_e32 v3, v3, v1
	v_lshlrev_b32_e32 v1, 24, v19
	v_cmp_gt_i64_e32 vcc, 0, v[0:1]
	v_not_b32_e32 v0, v1
	v_ashrrev_i32_e32 v0, 31, v0
	v_xor_b32_e32 v1, vcc_hi, v0
	v_xor_b32_e32 v0, vcc_lo, v0
	v_and_b32_e32 v6, v6, v7
	v_and_b32_e32 v0, v3, v0
	;; [unrolled: 1-line block ×3, first 2 shown]
	v_mbcnt_lo_u32_b32 v3, v0, 0
	v_mbcnt_hi_u32_b32 v7, v1, v3
	v_cmp_ne_u64_e32 vcc, 0, v[0:1]
	v_cmp_eq_u32_e64 s[26:27], 0, v7
	s_and_b64 s[28:29], vcc, s[26:27]
	v_add_u32_e32 v8, v17, v2
	s_waitcnt lgkmcnt(0)
	s_barrier
	; wave barrier
	s_and_saveexec_b64 s[26:27], s[28:29]
; %bb.17:
	v_bcnt_u32_b32 v0, v0, 0
	v_bcnt_u32_b32 v0, v1, v0
	ds_write_b32 v8, v0 offset:16
; %bb.18:
	s_or_b64 exec, exec, s[26:27]
	; wave barrier
	s_waitcnt lgkmcnt(0)
	s_barrier
	ds_read2_b64 v[0:3], v12 offset0:2 offset1:3
	s_waitcnt lgkmcnt(0)
	v_add_u32_e32 v6, v1, v0
	v_add3_u32 v3, v6, v2, v3
	s_nop 1
	v_mov_b32_dpp v6, v3 row_shr:1 row_mask:0xf bank_mask:0xf
	v_cndmask_b32_e64 v6, v6, 0, s[24:25]
	v_add_u32_e32 v3, v6, v3
	s_nop 1
	v_mov_b32_dpp v6, v3 row_shr:2 row_mask:0xf bank_mask:0xf
	v_cndmask_b32_e64 v6, 0, v6, s[22:23]
	v_add_u32_e32 v3, v3, v6
	;; [unrolled: 4-line block ×4, first 2 shown]
	s_nop 1
	v_mov_b32_dpp v6, v3 row_bcast:15 row_mask:0xf bank_mask:0xf
	v_cndmask_b32_e64 v6, v6, 0, s[16:17]
	v_add_u32_e32 v3, v3, v6
	s_nop 1
	v_mov_b32_dpp v6, v3 row_bcast:31 row_mask:0xf bank_mask:0xf
	v_cndmask_b32_e64 v6, 0, v6, s[12:13]
	v_add_u32_e32 v3, v3, v6
	s_and_saveexec_b64 s[26:27], s[14:15]
; %bb.19:
	ds_write_b32 v16, v3
; %bb.20:
	s_or_b64 exec, exec, s[26:27]
	s_waitcnt lgkmcnt(0)
	s_barrier
	s_and_saveexec_b64 s[26:27], s[6:7]
	s_cbranch_execz .LBB23_22
; %bb.21:
	ds_read_b32 v6, v13
	s_waitcnt lgkmcnt(0)
	s_nop 0
	v_mov_b32_dpp v9, v6 row_shr:1 row_mask:0xf bank_mask:0xf
	v_cndmask_b32_e64 v9, v9, 0, s[10:11]
	v_add_u32_e32 v6, v9, v6
	s_nop 1
	v_mov_b32_dpp v9, v6 row_shr:2 row_mask:0xf bank_mask:0xf
	v_cndmask_b32_e64 v9, 0, v9, s[8:9]
	v_add_u32_e32 v6, v6, v9
	ds_write_b32 v13, v6
.LBB23_22:
	s_or_b64 exec, exec, s[26:27]
	v_mov_b32_e32 v6, 0
	v_mov_b32_e32 v9, 0
	s_waitcnt lgkmcnt(0)
	s_barrier
	s_and_saveexec_b64 s[26:27], s[4:5]
; %bb.23:
	ds_read_b32 v9, v15
; %bb.24:
	s_or_b64 exec, exec, s[26:27]
	s_waitcnt lgkmcnt(0)
	v_add_u32_e32 v3, v9, v3
	ds_bpermute_b32 v3, v14, v3
	s_mov_b32 s26, 0
	s_mov_b32 s28, s26
	;; [unrolled: 1-line block ×4, first 2 shown]
	s_waitcnt lgkmcnt(0)
	v_cndmask_b32_e64 v3, v3, v9, s[0:1]
	v_cndmask_b32_e64 v9, v3, 0, s[2:3]
	v_add_u32_e32 v10, v9, v0
	v_add_u32_e32 v0, v10, v1
	;; [unrolled: 1-line block ×3, first 2 shown]
	ds_write2_b64 v12, v[9:10], v[0:1] offset0:2 offset1:3
	s_waitcnt lgkmcnt(0)
	s_barrier
	ds_read_b32 v0, v8 offset:16
	v_lshlrev_b32_e32 v1, 2, v7
	s_waitcnt lgkmcnt(0)
	s_barrier
	v_lshl_add_u32 v0, v0, 2, v1
	ds_write_b32 v0, v19
	s_waitcnt lgkmcnt(0)
	s_barrier
	ds_read_b32 v8, v18
	v_mov_b32_e32 v0, s26
	v_mov_b32_e32 v2, s28
	;; [unrolled: 1-line block ×4, first 2 shown]
	s_waitcnt lgkmcnt(0)
	s_barrier
	ds_write2_b64 v12, v[0:1], v[2:3] offset0:2 offset1:3
	v_lshrrev_b32_e32 v0, 8, v8
	v_mov_b32_e32 v1, 4
	v_lshlrev_b32_sdwa v2, v1, v0 dst_sel:DWORD dst_unused:UNUSED_PAD src0_sel:DWORD src1_sel:BYTE_0
	v_and_b32_e32 v1, 1, v0
	v_add_co_u32_e32 v3, vcc, -1, v1
	v_addc_co_u32_e64 v7, s[26:27], 0, -1, vcc
	v_cmp_ne_u32_e32 vcc, 0, v1
	v_xor_b32_e32 v1, vcc_hi, v7
	v_lshlrev_b32_e32 v7, 30, v0
	v_xor_b32_e32 v3, vcc_lo, v3
	v_cmp_gt_i64_e32 vcc, 0, v[6:7]
	v_not_b32_e32 v7, v7
	v_ashrrev_i32_e32 v7, 31, v7
	v_and_b32_e32 v3, exec_lo, v3
	v_xor_b32_e32 v9, vcc_hi, v7
	v_xor_b32_e32 v7, vcc_lo, v7
	v_and_b32_e32 v3, v3, v7
	v_lshlrev_b32_e32 v7, 29, v0
	v_cmp_gt_i64_e32 vcc, 0, v[6:7]
	v_not_b32_e32 v7, v7
	v_and_b32_e32 v1, exec_hi, v1
	v_ashrrev_i32_e32 v7, 31, v7
	v_and_b32_e32 v1, v1, v9
	v_xor_b32_e32 v9, vcc_hi, v7
	v_xor_b32_e32 v7, vcc_lo, v7
	v_and_b32_e32 v3, v3, v7
	v_lshlrev_b32_e32 v7, 28, v0
	v_cmp_gt_i64_e32 vcc, 0, v[6:7]
	v_not_b32_e32 v7, v7
	v_ashrrev_i32_e32 v7, 31, v7
	v_and_b32_e32 v1, v1, v9
	v_xor_b32_e32 v9, vcc_hi, v7
	v_xor_b32_e32 v7, vcc_lo, v7
	v_and_b32_e32 v3, v3, v7
	v_lshlrev_b32_e32 v7, 27, v0
	v_cmp_gt_i64_e32 vcc, 0, v[6:7]
	v_not_b32_e32 v7, v7
	;; [unrolled: 8-line block ×5, first 2 shown]
	v_ashrrev_i32_e32 v0, 31, v0
	v_xor_b32_e32 v6, vcc_hi, v0
	v_xor_b32_e32 v0, vcc_lo, v0
	v_and_b32_e32 v1, v1, v9
	v_and_b32_e32 v0, v3, v0
	;; [unrolled: 1-line block ×3, first 2 shown]
	v_mbcnt_lo_u32_b32 v3, v0, 0
	v_mbcnt_hi_u32_b32 v7, v1, v3
	v_cmp_ne_u64_e32 vcc, 0, v[0:1]
	v_cmp_eq_u32_e64 s[26:27], 0, v7
	s_and_b64 s[28:29], vcc, s[26:27]
	v_add_u32_e32 v9, v17, v2
	s_waitcnt lgkmcnt(0)
	s_barrier
	; wave barrier
	s_and_saveexec_b64 s[26:27], s[28:29]
; %bb.25:
	v_bcnt_u32_b32 v0, v0, 0
	v_bcnt_u32_b32 v0, v1, v0
	ds_write_b32 v9, v0 offset:16
; %bb.26:
	s_or_b64 exec, exec, s[26:27]
	; wave barrier
	s_waitcnt lgkmcnt(0)
	s_barrier
	ds_read2_b64 v[0:3], v12 offset0:2 offset1:3
	s_waitcnt lgkmcnt(0)
	v_add_u32_e32 v6, v1, v0
	v_add3_u32 v3, v6, v2, v3
	s_nop 1
	v_mov_b32_dpp v6, v3 row_shr:1 row_mask:0xf bank_mask:0xf
	v_cndmask_b32_e64 v6, v6, 0, s[24:25]
	v_add_u32_e32 v3, v6, v3
	s_nop 1
	v_mov_b32_dpp v6, v3 row_shr:2 row_mask:0xf bank_mask:0xf
	v_cndmask_b32_e64 v6, 0, v6, s[22:23]
	v_add_u32_e32 v3, v3, v6
	;; [unrolled: 4-line block ×4, first 2 shown]
	s_nop 1
	v_mov_b32_dpp v6, v3 row_bcast:15 row_mask:0xf bank_mask:0xf
	v_cndmask_b32_e64 v6, v6, 0, s[16:17]
	v_add_u32_e32 v3, v3, v6
	s_nop 1
	v_mov_b32_dpp v6, v3 row_bcast:31 row_mask:0xf bank_mask:0xf
	v_cndmask_b32_e64 v6, 0, v6, s[12:13]
	v_add_u32_e32 v3, v3, v6
	s_and_saveexec_b64 s[26:27], s[14:15]
; %bb.27:
	ds_write_b32 v16, v3
; %bb.28:
	s_or_b64 exec, exec, s[26:27]
	s_waitcnt lgkmcnt(0)
	s_barrier
	s_and_saveexec_b64 s[26:27], s[6:7]
	s_cbranch_execz .LBB23_30
; %bb.29:
	ds_read_b32 v6, v13
	s_waitcnt lgkmcnt(0)
	s_nop 0
	v_mov_b32_dpp v10, v6 row_shr:1 row_mask:0xf bank_mask:0xf
	v_cndmask_b32_e64 v10, v10, 0, s[10:11]
	v_add_u32_e32 v6, v10, v6
	s_nop 1
	v_mov_b32_dpp v10, v6 row_shr:2 row_mask:0xf bank_mask:0xf
	v_cndmask_b32_e64 v10, 0, v10, s[8:9]
	v_add_u32_e32 v6, v6, v10
	ds_write_b32 v13, v6
.LBB23_30:
	s_or_b64 exec, exec, s[26:27]
	v_mov_b32_e32 v6, 0
	v_mov_b32_e32 v10, 0
	s_waitcnt lgkmcnt(0)
	s_barrier
	s_and_saveexec_b64 s[26:27], s[4:5]
; %bb.31:
	ds_read_b32 v10, v15
; %bb.32:
	s_or_b64 exec, exec, s[26:27]
	s_waitcnt lgkmcnt(0)
	v_add_u32_e32 v3, v10, v3
	ds_bpermute_b32 v3, v14, v3
	s_mov_b32 s26, 0
	s_mov_b32 s28, s26
	;; [unrolled: 1-line block ×4, first 2 shown]
	s_waitcnt lgkmcnt(0)
	v_cndmask_b32_e64 v3, v3, v10, s[0:1]
	v_cndmask_b32_e64 v10, v3, 0, s[2:3]
	v_add_u32_e32 v11, v10, v0
	v_add_u32_e32 v0, v11, v1
	;; [unrolled: 1-line block ×3, first 2 shown]
	ds_write2_b64 v12, v[10:11], v[0:1] offset0:2 offset1:3
	s_waitcnt lgkmcnt(0)
	s_barrier
	ds_read_b32 v0, v9 offset:16
	v_lshlrev_b32_e32 v1, 2, v7
	s_waitcnt lgkmcnt(0)
	s_barrier
	v_lshl_add_u32 v0, v0, 2, v1
	ds_write_b32 v0, v8
	s_waitcnt lgkmcnt(0)
	s_barrier
	ds_read_b32 v8, v18
	v_mov_b32_e32 v0, s26
	v_mov_b32_e32 v2, s28
	;; [unrolled: 1-line block ×4, first 2 shown]
	s_movk_i32 s26, 0xff
	s_waitcnt lgkmcnt(0)
	s_barrier
	ds_write2_b64 v12, v[0:1], v[2:3] offset0:2 offset1:3
	v_and_b32_sdwa v0, v8, s26 dst_sel:DWORD dst_unused:UNUSED_PAD src0_sel:WORD_1 src1_sel:DWORD
	v_lshlrev_b32_e32 v2, 4, v0
	v_mov_b32_e32 v0, 1
	v_and_b32_sdwa v0, v8, v0 dst_sel:DWORD dst_unused:UNUSED_PAD src0_sel:WORD_1 src1_sel:DWORD
	v_add_co_u32_e32 v1, vcc, -1, v0
	v_addc_co_u32_e64 v3, s[26:27], 0, -1, vcc
	v_cmp_ne_u32_e32 vcc, 0, v0
	v_xor_b32_e32 v0, vcc_hi, v3
	v_mov_b32_e32 v3, 30
	v_lshlrev_b32_sdwa v7, v3, v8 dst_sel:DWORD dst_unused:UNUSED_PAD src0_sel:DWORD src1_sel:WORD_1
	v_xor_b32_e32 v1, vcc_lo, v1
	v_cmp_gt_i64_e32 vcc, 0, v[6:7]
	v_not_b32_e32 v3, v7
	v_ashrrev_i32_e32 v3, 31, v3
	v_and_b32_e32 v1, exec_lo, v1
	v_xor_b32_e32 v7, vcc_hi, v3
	v_xor_b32_e32 v3, vcc_lo, v3
	v_and_b32_e32 v0, exec_hi, v0
	v_and_b32_e32 v1, v1, v3
	v_mov_b32_e32 v3, 29
	v_and_b32_e32 v0, v0, v7
	v_lshlrev_b32_sdwa v7, v3, v8 dst_sel:DWORD dst_unused:UNUSED_PAD src0_sel:DWORD src1_sel:WORD_1
	v_cmp_gt_i64_e32 vcc, 0, v[6:7]
	v_not_b32_e32 v3, v7
	v_ashrrev_i32_e32 v3, 31, v3
	v_xor_b32_e32 v7, vcc_hi, v3
	v_xor_b32_e32 v3, vcc_lo, v3
	v_and_b32_e32 v1, v1, v3
	v_mov_b32_e32 v3, 28
	v_and_b32_e32 v0, v0, v7
	v_lshlrev_b32_sdwa v7, v3, v8 dst_sel:DWORD dst_unused:UNUSED_PAD src0_sel:DWORD src1_sel:WORD_1
	v_cmp_gt_i64_e32 vcc, 0, v[6:7]
	v_not_b32_e32 v3, v7
	v_ashrrev_i32_e32 v3, 31, v3
	v_xor_b32_e32 v7, vcc_hi, v3
	v_xor_b32_e32 v3, vcc_lo, v3
	;; [unrolled: 9-line block ×6, first 2 shown]
	v_and_b32_e32 v1, v0, v6
	v_and_b32_e32 v0, v3, v7
	v_mbcnt_lo_u32_b32 v3, v0, 0
	v_mbcnt_hi_u32_b32 v7, v1, v3
	v_cmp_ne_u64_e32 vcc, 0, v[0:1]
	v_cmp_eq_u32_e64 s[26:27], 0, v7
	s_and_b64 s[28:29], vcc, s[26:27]
	v_add_u32_e32 v9, v17, v2
	s_waitcnt lgkmcnt(0)
	s_barrier
	; wave barrier
	s_and_saveexec_b64 s[26:27], s[28:29]
; %bb.33:
	v_bcnt_u32_b32 v0, v0, 0
	v_bcnt_u32_b32 v0, v1, v0
	ds_write_b32 v9, v0 offset:16
; %bb.34:
	s_or_b64 exec, exec, s[26:27]
	; wave barrier
	s_waitcnt lgkmcnt(0)
	s_barrier
	ds_read2_b64 v[0:3], v12 offset0:2 offset1:3
	s_waitcnt lgkmcnt(0)
	v_add_u32_e32 v6, v1, v0
	v_add3_u32 v3, v6, v2, v3
	s_nop 1
	v_mov_b32_dpp v6, v3 row_shr:1 row_mask:0xf bank_mask:0xf
	v_cndmask_b32_e64 v6, v6, 0, s[24:25]
	v_add_u32_e32 v3, v6, v3
	s_nop 1
	v_mov_b32_dpp v6, v3 row_shr:2 row_mask:0xf bank_mask:0xf
	v_cndmask_b32_e64 v6, 0, v6, s[22:23]
	v_add_u32_e32 v3, v3, v6
	;; [unrolled: 4-line block ×4, first 2 shown]
	s_nop 1
	v_mov_b32_dpp v6, v3 row_bcast:15 row_mask:0xf bank_mask:0xf
	v_cndmask_b32_e64 v6, v6, 0, s[16:17]
	v_add_u32_e32 v3, v3, v6
	s_nop 1
	v_mov_b32_dpp v6, v3 row_bcast:31 row_mask:0xf bank_mask:0xf
	v_cndmask_b32_e64 v6, 0, v6, s[12:13]
	v_add_u32_e32 v3, v3, v6
	s_and_saveexec_b64 s[26:27], s[14:15]
; %bb.35:
	ds_write_b32 v16, v3
; %bb.36:
	s_or_b64 exec, exec, s[26:27]
	s_waitcnt lgkmcnt(0)
	s_barrier
	s_and_saveexec_b64 s[26:27], s[6:7]
	s_cbranch_execz .LBB23_38
; %bb.37:
	ds_read_b32 v6, v13
	s_waitcnt lgkmcnt(0)
	s_nop 0
	v_mov_b32_dpp v10, v6 row_shr:1 row_mask:0xf bank_mask:0xf
	v_cndmask_b32_e64 v10, v10, 0, s[10:11]
	v_add_u32_e32 v6, v10, v6
	s_nop 1
	v_mov_b32_dpp v10, v6 row_shr:2 row_mask:0xf bank_mask:0xf
	v_cndmask_b32_e64 v10, 0, v10, s[8:9]
	v_add_u32_e32 v6, v6, v10
	ds_write_b32 v13, v6
.LBB23_38:
	s_or_b64 exec, exec, s[26:27]
	v_mov_b32_e32 v6, 0
	v_mov_b32_e32 v10, 0
	s_waitcnt lgkmcnt(0)
	s_barrier
	s_and_saveexec_b64 s[26:27], s[4:5]
; %bb.39:
	ds_read_b32 v10, v15
; %bb.40:
	s_or_b64 exec, exec, s[26:27]
	s_waitcnt lgkmcnt(0)
	v_add_u32_e32 v3, v10, v3
	ds_bpermute_b32 v3, v14, v3
	s_mov_b32 s26, 0
	s_mov_b32 s28, s26
	;; [unrolled: 1-line block ×4, first 2 shown]
	s_waitcnt lgkmcnt(0)
	v_cndmask_b32_e64 v3, v3, v10, s[0:1]
	v_cndmask_b32_e64 v10, v3, 0, s[2:3]
	v_add_u32_e32 v11, v10, v0
	v_add_u32_e32 v0, v11, v1
	;; [unrolled: 1-line block ×3, first 2 shown]
	ds_write2_b64 v12, v[10:11], v[0:1] offset0:2 offset1:3
	s_waitcnt lgkmcnt(0)
	s_barrier
	ds_read_b32 v0, v9 offset:16
	v_lshlrev_b32_e32 v1, 2, v7
	s_waitcnt lgkmcnt(0)
	s_barrier
	v_lshl_add_u32 v0, v0, 2, v1
	ds_write_b32 v0, v8
	s_waitcnt lgkmcnt(0)
	s_barrier
	ds_read_b32 v8, v18
	v_mov_b32_e32 v0, s26
	v_mov_b32_e32 v2, s28
	;; [unrolled: 1-line block ×4, first 2 shown]
	s_waitcnt lgkmcnt(0)
	s_barrier
	ds_write2_b64 v12, v[0:1], v[2:3] offset0:2 offset1:3
	v_mov_b32_e32 v0, 4
	v_lshlrev_b32_sdwa v2, v0, v8 dst_sel:DWORD dst_unused:UNUSED_PAD src0_sel:DWORD src1_sel:BYTE_3
	v_mov_b32_e32 v0, 1
	v_and_b32_sdwa v0, v8, v0 dst_sel:DWORD dst_unused:UNUSED_PAD src0_sel:BYTE_3 src1_sel:DWORD
	v_add_co_u32_e32 v1, vcc, -1, v0
	v_addc_co_u32_e64 v3, s[26:27], 0, -1, vcc
	v_cmp_ne_u32_e32 vcc, 0, v0
	v_xor_b32_e32 v0, vcc_hi, v3
	v_mov_b32_e32 v3, 30
	v_lshlrev_b32_sdwa v7, v3, v8 dst_sel:DWORD dst_unused:UNUSED_PAD src0_sel:DWORD src1_sel:BYTE_3
	v_xor_b32_e32 v1, vcc_lo, v1
	v_cmp_gt_i64_e32 vcc, 0, v[6:7]
	v_not_b32_e32 v3, v7
	v_ashrrev_i32_e32 v3, 31, v3
	v_and_b32_e32 v1, exec_lo, v1
	v_xor_b32_e32 v7, vcc_hi, v3
	v_xor_b32_e32 v3, vcc_lo, v3
	v_and_b32_e32 v0, exec_hi, v0
	v_and_b32_e32 v1, v1, v3
	v_mov_b32_e32 v3, 29
	v_and_b32_e32 v0, v0, v7
	v_lshlrev_b32_sdwa v7, v3, v8 dst_sel:DWORD dst_unused:UNUSED_PAD src0_sel:DWORD src1_sel:BYTE_3
	v_cmp_gt_i64_e32 vcc, 0, v[6:7]
	v_not_b32_e32 v3, v7
	v_ashrrev_i32_e32 v3, 31, v3
	v_xor_b32_e32 v7, vcc_hi, v3
	v_xor_b32_e32 v3, vcc_lo, v3
	v_and_b32_e32 v1, v1, v3
	v_mov_b32_e32 v3, 28
	v_and_b32_e32 v0, v0, v7
	v_lshlrev_b32_sdwa v7, v3, v8 dst_sel:DWORD dst_unused:UNUSED_PAD src0_sel:DWORD src1_sel:BYTE_3
	v_cmp_gt_i64_e32 vcc, 0, v[6:7]
	v_not_b32_e32 v3, v7
	v_ashrrev_i32_e32 v3, 31, v3
	v_xor_b32_e32 v7, vcc_hi, v3
	v_xor_b32_e32 v3, vcc_lo, v3
	;; [unrolled: 9-line block ×6, first 2 shown]
	v_and_b32_e32 v1, v0, v6
	v_and_b32_e32 v0, v3, v7
	v_mbcnt_lo_u32_b32 v3, v0, 0
	v_mbcnt_hi_u32_b32 v6, v1, v3
	v_cmp_ne_u64_e32 vcc, 0, v[0:1]
	v_cmp_eq_u32_e64 s[26:27], 0, v6
	s_and_b64 s[28:29], vcc, s[26:27]
	v_add_u32_e32 v7, v17, v2
	s_waitcnt lgkmcnt(0)
	s_barrier
	; wave barrier
	s_and_saveexec_b64 s[26:27], s[28:29]
; %bb.41:
	v_bcnt_u32_b32 v0, v0, 0
	v_bcnt_u32_b32 v0, v1, v0
	ds_write_b32 v7, v0 offset:16
; %bb.42:
	s_or_b64 exec, exec, s[26:27]
	; wave barrier
	s_waitcnt lgkmcnt(0)
	s_barrier
	ds_read2_b64 v[0:3], v12 offset0:2 offset1:3
	s_waitcnt lgkmcnt(0)
	v_add_u32_e32 v9, v1, v0
	v_add3_u32 v3, v9, v2, v3
	s_nop 1
	v_mov_b32_dpp v9, v3 row_shr:1 row_mask:0xf bank_mask:0xf
	v_cndmask_b32_e64 v9, v9, 0, s[24:25]
	v_add_u32_e32 v3, v9, v3
	s_nop 1
	v_mov_b32_dpp v9, v3 row_shr:2 row_mask:0xf bank_mask:0xf
	v_cndmask_b32_e64 v9, 0, v9, s[22:23]
	v_add_u32_e32 v3, v3, v9
	;; [unrolled: 4-line block ×4, first 2 shown]
	s_nop 1
	v_mov_b32_dpp v9, v3 row_bcast:15 row_mask:0xf bank_mask:0xf
	v_cndmask_b32_e64 v9, v9, 0, s[16:17]
	v_add_u32_e32 v3, v3, v9
	s_nop 1
	v_mov_b32_dpp v9, v3 row_bcast:31 row_mask:0xf bank_mask:0xf
	v_cndmask_b32_e64 v9, 0, v9, s[12:13]
	v_add_u32_e32 v3, v3, v9
	s_and_saveexec_b64 s[12:13], s[14:15]
; %bb.43:
	ds_write_b32 v16, v3
; %bb.44:
	s_or_b64 exec, exec, s[12:13]
	s_waitcnt lgkmcnt(0)
	s_barrier
	s_and_saveexec_b64 s[12:13], s[6:7]
	s_cbranch_execz .LBB23_46
; %bb.45:
	ds_read_b32 v9, v13
	s_waitcnt lgkmcnt(0)
	s_nop 0
	v_mov_b32_dpp v10, v9 row_shr:1 row_mask:0xf bank_mask:0xf
	v_cndmask_b32_e64 v10, v10, 0, s[10:11]
	v_add_u32_e32 v9, v10, v9
	s_nop 1
	v_mov_b32_dpp v10, v9 row_shr:2 row_mask:0xf bank_mask:0xf
	v_cndmask_b32_e64 v10, 0, v10, s[8:9]
	v_add_u32_e32 v9, v9, v10
	ds_write_b32 v13, v9
.LBB23_46:
	s_or_b64 exec, exec, s[12:13]
	v_mov_b32_e32 v9, 0
	s_waitcnt lgkmcnt(0)
	s_barrier
	s_and_saveexec_b64 s[6:7], s[4:5]
; %bb.47:
	ds_read_b32 v9, v15
; %bb.48:
	s_or_b64 exec, exec, s[6:7]
	s_waitcnt lgkmcnt(0)
	v_add_u32_e32 v3, v9, v3
	ds_bpermute_b32 v3, v14, v3
	s_waitcnt lgkmcnt(0)
	v_cndmask_b32_e64 v3, v3, v9, s[0:1]
	v_cndmask_b32_e64 v9, v3, 0, s[2:3]
	v_add_u32_e32 v10, v9, v0
	v_add_u32_e32 v0, v10, v1
	;; [unrolled: 1-line block ×3, first 2 shown]
	ds_write2_b64 v12, v[9:10], v[0:1] offset0:2 offset1:3
	s_waitcnt lgkmcnt(0)
	s_barrier
	ds_read_b32 v0, v7 offset:16
	v_lshlrev_b32_e32 v1, 2, v6
	s_waitcnt lgkmcnt(0)
	s_barrier
	v_lshl_add_u32 v0, v0, 2, v1
	ds_write_b32 v0, v8
	s_waitcnt lgkmcnt(0)
	s_barrier
	ds_read_b32 v0, v13
	s_waitcnt lgkmcnt(0)
	global_store_dword v[4:5], v0, off
	s_endpgm
	.section	.rodata,"a",@progbits
	.p2align	6, 0x0
	.amdhsa_kernel _Z15sort_key_kernelILj256ELj1ELb0ELb0EjEvPT3_jj
		.amdhsa_group_segment_fixed_size 4112
		.amdhsa_private_segment_fixed_size 0
		.amdhsa_kernarg_size 272
		.amdhsa_user_sgpr_count 6
		.amdhsa_user_sgpr_private_segment_buffer 1
		.amdhsa_user_sgpr_dispatch_ptr 0
		.amdhsa_user_sgpr_queue_ptr 0
		.amdhsa_user_sgpr_kernarg_segment_ptr 1
		.amdhsa_user_sgpr_dispatch_id 0
		.amdhsa_user_sgpr_flat_scratch_init 0
		.amdhsa_user_sgpr_private_segment_size 0
		.amdhsa_uses_dynamic_stack 0
		.amdhsa_system_sgpr_private_segment_wavefront_offset 0
		.amdhsa_system_sgpr_workgroup_id_x 1
		.amdhsa_system_sgpr_workgroup_id_y 0
		.amdhsa_system_sgpr_workgroup_id_z 0
		.amdhsa_system_sgpr_workgroup_info 0
		.amdhsa_system_vgpr_workitem_id 2
		.amdhsa_next_free_vgpr 25
		.amdhsa_next_free_sgpr 36
		.amdhsa_reserve_vcc 1
		.amdhsa_reserve_flat_scratch 0
		.amdhsa_float_round_mode_32 0
		.amdhsa_float_round_mode_16_64 0
		.amdhsa_float_denorm_mode_32 3
		.amdhsa_float_denorm_mode_16_64 3
		.amdhsa_dx10_clamp 1
		.amdhsa_ieee_mode 1
		.amdhsa_fp16_overflow 0
		.amdhsa_exception_fp_ieee_invalid_op 0
		.amdhsa_exception_fp_denorm_src 0
		.amdhsa_exception_fp_ieee_div_zero 0
		.amdhsa_exception_fp_ieee_overflow 0
		.amdhsa_exception_fp_ieee_underflow 0
		.amdhsa_exception_fp_ieee_inexact 0
		.amdhsa_exception_int_div_zero 0
	.end_amdhsa_kernel
	.section	.text._Z15sort_key_kernelILj256ELj1ELb0ELb0EjEvPT3_jj,"axG",@progbits,_Z15sort_key_kernelILj256ELj1ELb0ELb0EjEvPT3_jj,comdat
.Lfunc_end23:
	.size	_Z15sort_key_kernelILj256ELj1ELb0ELb0EjEvPT3_jj, .Lfunc_end23-_Z15sort_key_kernelILj256ELj1ELb0ELb0EjEvPT3_jj
                                        ; -- End function
	.set _Z15sort_key_kernelILj256ELj1ELb0ELb0EjEvPT3_jj.num_vgpr, 25
	.set _Z15sort_key_kernelILj256ELj1ELb0ELb0EjEvPT3_jj.num_agpr, 0
	.set _Z15sort_key_kernelILj256ELj1ELb0ELb0EjEvPT3_jj.numbered_sgpr, 36
	.set _Z15sort_key_kernelILj256ELj1ELb0ELb0EjEvPT3_jj.num_named_barrier, 0
	.set _Z15sort_key_kernelILj256ELj1ELb0ELb0EjEvPT3_jj.private_seg_size, 0
	.set _Z15sort_key_kernelILj256ELj1ELb0ELb0EjEvPT3_jj.uses_vcc, 1
	.set _Z15sort_key_kernelILj256ELj1ELb0ELb0EjEvPT3_jj.uses_flat_scratch, 0
	.set _Z15sort_key_kernelILj256ELj1ELb0ELb0EjEvPT3_jj.has_dyn_sized_stack, 0
	.set _Z15sort_key_kernelILj256ELj1ELb0ELb0EjEvPT3_jj.has_recursion, 0
	.set _Z15sort_key_kernelILj256ELj1ELb0ELb0EjEvPT3_jj.has_indirect_call, 0
	.section	.AMDGPU.csdata,"",@progbits
; Kernel info:
; codeLenInByte = 4720
; TotalNumSgprs: 40
; NumVgprs: 25
; ScratchSize: 0
; MemoryBound: 0
; FloatMode: 240
; IeeeMode: 1
; LDSByteSize: 4112 bytes/workgroup (compile time only)
; SGPRBlocks: 4
; VGPRBlocks: 6
; NumSGPRsForWavesPerEU: 40
; NumVGPRsForWavesPerEU: 25
; Occupancy: 9
; WaveLimiterHint : 0
; COMPUTE_PGM_RSRC2:SCRATCH_EN: 0
; COMPUTE_PGM_RSRC2:USER_SGPR: 6
; COMPUTE_PGM_RSRC2:TRAP_HANDLER: 0
; COMPUTE_PGM_RSRC2:TGID_X_EN: 1
; COMPUTE_PGM_RSRC2:TGID_Y_EN: 0
; COMPUTE_PGM_RSRC2:TGID_Z_EN: 0
; COMPUTE_PGM_RSRC2:TIDIG_COMP_CNT: 2
	.section	.text._Z15sort_key_kernelILj128ELj1ELb0ELb0EiEvPT3_jj,"axG",@progbits,_Z15sort_key_kernelILj128ELj1ELb0ELb0EiEvPT3_jj,comdat
	.protected	_Z15sort_key_kernelILj128ELj1ELb0ELb0EiEvPT3_jj ; -- Begin function _Z15sort_key_kernelILj128ELj1ELb0ELb0EiEvPT3_jj
	.globl	_Z15sort_key_kernelILj128ELj1ELb0ELb0EiEvPT3_jj
	.p2align	8
	.type	_Z15sort_key_kernelILj128ELj1ELb0ELb0EiEvPT3_jj,@function
_Z15sort_key_kernelILj128ELj1ELb0ELb0EiEvPT3_jj: ; @_Z15sort_key_kernelILj128ELj1ELb0ELb0EiEvPT3_jj
; %bb.0:
	s_load_dwordx4 s[24:27], s[4:5], 0x0
	s_load_dword s33, s[4:5], 0x1c
	s_lshl_b32 s28, s6, 7
	s_mov_b32 s29, 0
	s_lshl_b64 s[0:1], s[28:29], 2
	s_waitcnt lgkmcnt(0)
	s_add_u32 s30, s24, s0
	s_addc_u32 s31, s25, s1
	v_lshlrev_b32_e32 v3, 2, v0
	global_load_dword v20, v3, s[30:31]
	v_mbcnt_lo_u32_b32 v4, -1, 0
	v_mbcnt_hi_u32_b32 v4, -1, v4
	v_and_b32_e32 v5, 64, v0
	v_subrev_co_u32_e64 v11, s[2:3], 1, v4
	v_and_b32_e32 v14, 64, v4
	v_lshrrev_b32_e32 v7, 4, v0
	v_and_b32_e32 v8, 15, v4
	v_or_b32_e32 v10, 63, v5
	v_lshlrev_b32_e32 v5, 2, v5
	v_cmp_lt_i32_e32 vcc, v11, v14
	s_cmp_eq_u32 s26, 0
	v_and_b32_e32 v9, 16, v4
	v_cmp_lt_u32_e64 s[10:11], 31, v4
	v_and_b32_e32 v16, 4, v7
	v_and_b32_e32 v7, 1, v4
	v_cmp_eq_u32_e64 s[22:23], 0, v8
	v_cmp_lt_u32_e64 s[20:21], 1, v8
	v_cmp_lt_u32_e64 s[18:19], 3, v8
	;; [unrolled: 1-line block ×3, first 2 shown]
	v_cndmask_b32_e32 v8, v11, v4, vcc
	v_lshl_add_u32 v18, v4, 2, v5
	v_mov_b32_e32 v5, s31
	v_add_co_u32_e32 v4, vcc, s30, v3
	s_cselect_b64 s[30:31], -1, 0
	s_cmp_eq_u32 s27, 32
	s_cselect_b64 s[34:35], -1, 0
	s_lshr_b32 s28, s33, 16
	s_and_b32 s33, s33, 0xffff
	v_mad_u32_u24 v1, v2, s28, v1
	v_lshlrev_b32_e32 v12, 4, v0
	v_cmp_gt_u32_e64 s[6:7], 2, v0
	v_cmp_lt_u32_e64 s[4:5], 63, v0
	v_cmp_eq_u32_e64 s[0:1], 0, v0
	v_mul_i32_i24_e32 v13, -12, v0
	v_cmp_eq_u32_e64 s[12:13], v0, v10
	v_mad_u32_u24 v0, v1, s33, v0
	v_addc_co_u32_e32 v5, vcc, 0, v5, vcc
	s_and_b64 s[30:31], s[30:31], s[34:35]
	v_lshrrev_b32_e32 v0, 4, v0
	v_mov_b32_e32 v6, 0
	s_mov_b64 s[24:25], -1
	v_cmp_eq_u32_e64 s[14:15], 0, v9
	v_cmp_eq_u32_e64 s[8:9], 0, v7
	v_add_u32_e32 v15, -4, v16
	v_lshlrev_b32_e32 v14, 2, v8
	s_and_b64 vcc, exec, s[30:31]
	v_and_b32_e32 v17, 0xffffffc, v0
	s_waitcnt vmcnt(0)
	v_xor_b32_e32 v19, 0x80000000, v20
	s_cbranch_vccnz .LBB24_14
; %bb.1:
	s_sub_i32 s24, s27, s26
	v_mov_b32_e32 v21, s24
	s_mov_b32 s28, s29
	s_mov_b32 s24, s29
	;; [unrolled: 1-line block ×3, first 2 shown]
	v_mov_b32_e32 v8, s28
	v_mov_b32_e32 v10, s24
	;; [unrolled: 1-line block ×5, first 2 shown]
	s_branch .LBB24_3
.LBB24_2:                               ;   in Loop: Header=BB24_3 Depth=1
	s_andn2_b64 vcc, exec, s[24:25]
	s_cbranch_vccz .LBB24_13
.LBB24_3:                               ; =>This Inner Loop Header: Depth=1
	v_mov_b32_e32 v22, v1
	v_min_u32_e32 v0, 8, v21
	v_lshrrev_b32_e32 v1, s26, v22
	v_bfe_u32 v0, v1, 0, v0
	v_and_b32_e32 v1, 1, v0
	v_add_co_u32_e32 v3, vcc, -1, v1
	v_addc_co_u32_e64 v7, s[24:25], 0, -1, vcc
	v_cmp_ne_u32_e32 vcc, 0, v1
	v_xor_b32_e32 v1, vcc_hi, v7
	v_lshlrev_b32_e32 v7, 30, v0
	v_xor_b32_e32 v3, vcc_lo, v3
	v_cmp_gt_i64_e32 vcc, 0, v[6:7]
	v_not_b32_e32 v7, v7
	v_ashrrev_i32_e32 v7, 31, v7
	v_and_b32_e32 v3, exec_lo, v3
	v_xor_b32_e32 v23, vcc_hi, v7
	v_xor_b32_e32 v7, vcc_lo, v7
	v_and_b32_e32 v3, v3, v7
	v_lshlrev_b32_e32 v7, 29, v0
	v_cmp_gt_i64_e32 vcc, 0, v[6:7]
	v_not_b32_e32 v7, v7
	v_and_b32_e32 v1, exec_hi, v1
	v_ashrrev_i32_e32 v7, 31, v7
	v_and_b32_e32 v1, v1, v23
	v_xor_b32_e32 v23, vcc_hi, v7
	v_xor_b32_e32 v7, vcc_lo, v7
	v_and_b32_e32 v3, v3, v7
	v_lshlrev_b32_e32 v7, 28, v0
	v_cmp_gt_i64_e32 vcc, 0, v[6:7]
	v_not_b32_e32 v7, v7
	v_ashrrev_i32_e32 v7, 31, v7
	v_and_b32_e32 v1, v1, v23
	v_xor_b32_e32 v23, vcc_hi, v7
	v_xor_b32_e32 v7, vcc_lo, v7
	v_and_b32_e32 v3, v3, v7
	v_lshlrev_b32_e32 v7, 27, v0
	v_cmp_gt_i64_e32 vcc, 0, v[6:7]
	v_not_b32_e32 v7, v7
	;; [unrolled: 8-line block ×4, first 2 shown]
	v_ashrrev_i32_e32 v7, 31, v7
	v_and_b32_e32 v1, v1, v23
	v_xor_b32_e32 v23, vcc_hi, v7
	v_xor_b32_e32 v7, vcc_lo, v7
	v_and_b32_e32 v3, v3, v7
	v_lshlrev_b32_e32 v7, 24, v0
	v_lshlrev_b32_e32 v2, 3, v0
	v_cmp_gt_i64_e32 vcc, 0, v[6:7]
	v_not_b32_e32 v0, v7
	v_ashrrev_i32_e32 v0, 31, v0
	v_xor_b32_e32 v7, vcc_hi, v0
	v_xor_b32_e32 v0, vcc_lo, v0
	v_and_b32_e32 v1, v1, v23
	v_and_b32_e32 v0, v3, v0
	;; [unrolled: 1-line block ×3, first 2 shown]
	v_mbcnt_lo_u32_b32 v3, v0, 0
	v_mbcnt_hi_u32_b32 v7, v1, v3
	v_cmp_ne_u64_e32 vcc, 0, v[0:1]
	v_cmp_eq_u32_e64 s[24:25], 0, v7
	s_and_b64 s[28:29], vcc, s[24:25]
	v_add_u32_e32 v23, v17, v2
	ds_write2_b64 v12, v[8:9], v[10:11] offset0:1 offset1:2
	s_waitcnt lgkmcnt(0)
	s_barrier
	; wave barrier
	s_and_saveexec_b64 s[24:25], s[28:29]
; %bb.4:                                ;   in Loop: Header=BB24_3 Depth=1
	v_bcnt_u32_b32 v0, v0, 0
	v_bcnt_u32_b32 v0, v1, v0
	ds_write_b32 v23, v0 offset:8
; %bb.5:                                ;   in Loop: Header=BB24_3 Depth=1
	s_or_b64 exec, exec, s[24:25]
	; wave barrier
	s_waitcnt lgkmcnt(0)
	s_barrier
	ds_read2_b64 v[0:3], v12 offset0:1 offset1:2
	s_waitcnt lgkmcnt(0)
	v_add_u32_e32 v24, v1, v0
	v_add3_u32 v3, v24, v2, v3
	s_nop 1
	v_mov_b32_dpp v24, v3 row_shr:1 row_mask:0xf bank_mask:0xf
	v_cndmask_b32_e64 v24, v24, 0, s[22:23]
	v_add_u32_e32 v3, v24, v3
	s_nop 1
	v_mov_b32_dpp v24, v3 row_shr:2 row_mask:0xf bank_mask:0xf
	v_cndmask_b32_e64 v24, 0, v24, s[20:21]
	v_add_u32_e32 v3, v3, v24
	;; [unrolled: 4-line block ×4, first 2 shown]
	s_nop 1
	v_mov_b32_dpp v24, v3 row_bcast:15 row_mask:0xf bank_mask:0xf
	v_cndmask_b32_e64 v24, v24, 0, s[14:15]
	v_add_u32_e32 v3, v3, v24
	s_nop 1
	v_mov_b32_dpp v24, v3 row_bcast:31 row_mask:0xf bank_mask:0xf
	v_cndmask_b32_e64 v24, 0, v24, s[10:11]
	v_add_u32_e32 v3, v3, v24
	s_and_saveexec_b64 s[24:25], s[12:13]
; %bb.6:                                ;   in Loop: Header=BB24_3 Depth=1
	ds_write_b32 v16, v3
; %bb.7:                                ;   in Loop: Header=BB24_3 Depth=1
	s_or_b64 exec, exec, s[24:25]
	s_waitcnt lgkmcnt(0)
	s_barrier
	s_and_saveexec_b64 s[24:25], s[6:7]
	s_cbranch_execz .LBB24_9
; %bb.8:                                ;   in Loop: Header=BB24_3 Depth=1
	v_add_u32_e32 v24, v12, v13
	ds_read_b32 v25, v24
	s_waitcnt lgkmcnt(0)
	s_nop 0
	v_mov_b32_dpp v26, v25 row_shr:1 row_mask:0xf bank_mask:0xf
	v_cndmask_b32_e64 v26, v26, 0, s[8:9]
	v_add_u32_e32 v25, v26, v25
	ds_write_b32 v24, v25
.LBB24_9:                               ;   in Loop: Header=BB24_3 Depth=1
	s_or_b64 exec, exec, s[24:25]
	v_mov_b32_e32 v24, 0
	s_waitcnt lgkmcnt(0)
	s_barrier
	s_and_saveexec_b64 s[24:25], s[4:5]
; %bb.10:                               ;   in Loop: Header=BB24_3 Depth=1
	ds_read_b32 v24, v15
; %bb.11:                               ;   in Loop: Header=BB24_3 Depth=1
	s_or_b64 exec, exec, s[24:25]
	s_waitcnt lgkmcnt(0)
	v_add_u32_e32 v3, v24, v3
	ds_bpermute_b32 v3, v14, v3
	s_add_i32 s26, s26, 8
	s_cmp_ge_u32 s26, s27
	s_mov_b64 s[24:25], -1
	s_waitcnt lgkmcnt(0)
	v_cndmask_b32_e64 v3, v3, v24, s[2:3]
	v_cndmask_b32_e64 v24, v3, 0, s[0:1]
	v_add_u32_e32 v25, v24, v0
	v_add_u32_e32 v0, v25, v1
	v_add_u32_e32 v1, v0, v2
	ds_write2_b64 v12, v[24:25], v[0:1] offset0:1 offset1:2
	s_waitcnt lgkmcnt(0)
	s_barrier
	ds_read_b32 v0, v23 offset:8
	v_lshlrev_b32_e32 v1, 2, v7
	s_waitcnt lgkmcnt(0)
	v_lshl_add_u32 v0, v0, 2, v1
                                        ; implicit-def: $vgpr1
	s_cbranch_scc1 .LBB24_2
; %bb.12:                               ;   in Loop: Header=BB24_3 Depth=1
	s_barrier
	ds_write_b32 v0, v22
	s_waitcnt lgkmcnt(0)
	s_barrier
	ds_read_b32 v1, v18
	v_add_u32_e32 v21, -8, v21
	s_mov_b64 s[24:25], 0
	s_waitcnt lgkmcnt(0)
	s_barrier
	s_branch .LBB24_2
.LBB24_13:
	s_mov_b64 s[24:25], 0
	s_barrier
	ds_write_b32 v0, v22
	s_waitcnt lgkmcnt(0)
	s_barrier
.LBB24_14:
	s_and_b64 vcc, exec, s[24:25]
	s_cbranch_vccz .LBB24_48
; %bb.15:
	s_mov_b32 s24, 0
	s_mov_b32 s26, s24
	;; [unrolled: 1-line block ×4, first 2 shown]
	v_mov_b32_e32 v0, s24
	v_mov_b32_e32 v2, s26
	;; [unrolled: 1-line block ×4, first 2 shown]
	ds_write2_b64 v12, v[0:1], v[2:3] offset0:1 offset1:2
	v_and_b32_e32 v1, 1, v20
	v_add_co_u32_e32 v3, vcc, -1, v1
	v_addc_co_u32_e64 v6, s[24:25], 0, -1, vcc
	v_cmp_ne_u32_e32 vcc, 0, v1
	v_mov_b32_e32 v0, 3
	v_xor_b32_e32 v1, vcc_hi, v6
	v_lshlrev_b32_sdwa v2, v0, v20 dst_sel:DWORD dst_unused:UNUSED_PAD src0_sel:DWORD src1_sel:BYTE_0
	v_mov_b32_e32 v0, 0
	v_and_b32_e32 v6, exec_hi, v1
	v_lshlrev_b32_e32 v1, 30, v20
	v_xor_b32_e32 v3, vcc_lo, v3
	v_cmp_gt_i64_e32 vcc, 0, v[0:1]
	v_not_b32_e32 v1, v1
	v_ashrrev_i32_e32 v1, 31, v1
	v_and_b32_e32 v3, exec_lo, v3
	v_xor_b32_e32 v7, vcc_hi, v1
	v_xor_b32_e32 v1, vcc_lo, v1
	v_and_b32_e32 v3, v3, v1
	v_lshlrev_b32_e32 v1, 29, v20
	v_cmp_gt_i64_e32 vcc, 0, v[0:1]
	v_not_b32_e32 v1, v1
	v_ashrrev_i32_e32 v1, 31, v1
	v_and_b32_e32 v6, v6, v7
	v_xor_b32_e32 v7, vcc_hi, v1
	v_xor_b32_e32 v1, vcc_lo, v1
	v_and_b32_e32 v3, v3, v1
	v_lshlrev_b32_e32 v1, 28, v20
	v_cmp_gt_i64_e32 vcc, 0, v[0:1]
	v_not_b32_e32 v1, v1
	v_ashrrev_i32_e32 v1, 31, v1
	v_and_b32_e32 v6, v6, v7
	;; [unrolled: 8-line block ×5, first 2 shown]
	v_xor_b32_e32 v7, vcc_hi, v1
	v_xor_b32_e32 v1, vcc_lo, v1
	v_and_b32_e32 v3, v3, v1
	v_lshlrev_b32_e32 v1, 24, v20
	v_cmp_gt_i64_e32 vcc, 0, v[0:1]
	v_not_b32_e32 v0, v1
	v_ashrrev_i32_e32 v0, 31, v0
	v_xor_b32_e32 v1, vcc_hi, v0
	v_xor_b32_e32 v0, vcc_lo, v0
	v_and_b32_e32 v6, v6, v7
	v_and_b32_e32 v0, v3, v0
	;; [unrolled: 1-line block ×3, first 2 shown]
	v_mbcnt_lo_u32_b32 v3, v0, 0
	v_mbcnt_hi_u32_b32 v7, v1, v3
	v_cmp_ne_u64_e32 vcc, 0, v[0:1]
	v_cmp_eq_u32_e64 s[24:25], 0, v7
	s_and_b64 s[26:27], vcc, s[24:25]
	v_add_u32_e32 v8, v17, v2
	s_waitcnt lgkmcnt(0)
	s_barrier
	; wave barrier
	s_and_saveexec_b64 s[24:25], s[26:27]
; %bb.16:
	v_bcnt_u32_b32 v0, v0, 0
	v_bcnt_u32_b32 v0, v1, v0
	ds_write_b32 v8, v0 offset:8
; %bb.17:
	s_or_b64 exec, exec, s[24:25]
	; wave barrier
	s_waitcnt lgkmcnt(0)
	s_barrier
	ds_read2_b64 v[0:3], v12 offset0:1 offset1:2
	s_waitcnt lgkmcnt(0)
	v_add_u32_e32 v6, v1, v0
	v_add3_u32 v3, v6, v2, v3
	s_nop 1
	v_mov_b32_dpp v6, v3 row_shr:1 row_mask:0xf bank_mask:0xf
	v_cndmask_b32_e64 v6, v6, 0, s[22:23]
	v_add_u32_e32 v3, v6, v3
	s_nop 1
	v_mov_b32_dpp v6, v3 row_shr:2 row_mask:0xf bank_mask:0xf
	v_cndmask_b32_e64 v6, 0, v6, s[20:21]
	v_add_u32_e32 v3, v3, v6
	;; [unrolled: 4-line block ×4, first 2 shown]
	s_nop 1
	v_mov_b32_dpp v6, v3 row_bcast:15 row_mask:0xf bank_mask:0xf
	v_cndmask_b32_e64 v6, v6, 0, s[14:15]
	v_add_u32_e32 v3, v3, v6
	s_nop 1
	v_mov_b32_dpp v6, v3 row_bcast:31 row_mask:0xf bank_mask:0xf
	v_cndmask_b32_e64 v6, 0, v6, s[10:11]
	v_add_u32_e32 v3, v3, v6
	s_and_saveexec_b64 s[24:25], s[12:13]
; %bb.18:
	ds_write_b32 v16, v3
; %bb.19:
	s_or_b64 exec, exec, s[24:25]
	s_waitcnt lgkmcnt(0)
	s_barrier
	s_and_saveexec_b64 s[24:25], s[6:7]
	s_cbranch_execz .LBB24_21
; %bb.20:
	v_add_u32_e32 v6, v12, v13
	ds_read_b32 v9, v6
	s_waitcnt lgkmcnt(0)
	s_nop 0
	v_mov_b32_dpp v10, v9 row_shr:1 row_mask:0xf bank_mask:0xf
	v_cndmask_b32_e64 v10, v10, 0, s[8:9]
	v_add_u32_e32 v9, v10, v9
	ds_write_b32 v6, v9
.LBB24_21:
	s_or_b64 exec, exec, s[24:25]
	v_mov_b32_e32 v6, 0
	v_mov_b32_e32 v9, 0
	s_waitcnt lgkmcnt(0)
	s_barrier
	s_and_saveexec_b64 s[24:25], s[4:5]
; %bb.22:
	ds_read_b32 v9, v15
; %bb.23:
	s_or_b64 exec, exec, s[24:25]
	s_waitcnt lgkmcnt(0)
	v_add_u32_e32 v3, v9, v3
	ds_bpermute_b32 v3, v14, v3
	s_mov_b32 s24, 0
	s_mov_b32 s26, s24
	;; [unrolled: 1-line block ×4, first 2 shown]
	s_waitcnt lgkmcnt(0)
	v_cndmask_b32_e64 v3, v3, v9, s[2:3]
	v_cndmask_b32_e64 v9, v3, 0, s[0:1]
	v_add_u32_e32 v10, v9, v0
	v_add_u32_e32 v0, v10, v1
	;; [unrolled: 1-line block ×3, first 2 shown]
	ds_write2_b64 v12, v[9:10], v[0:1] offset0:1 offset1:2
	s_waitcnt lgkmcnt(0)
	s_barrier
	ds_read_b32 v0, v8 offset:8
	v_lshlrev_b32_e32 v1, 2, v7
	s_waitcnt lgkmcnt(0)
	s_barrier
	v_lshl_add_u32 v0, v0, 2, v1
	ds_write_b32 v0, v19
	s_waitcnt lgkmcnt(0)
	s_barrier
	ds_read_b32 v8, v18
	v_mov_b32_e32 v0, s24
	v_mov_b32_e32 v2, s26
	v_mov_b32_e32 v1, s25
	v_mov_b32_e32 v3, s27
	s_waitcnt lgkmcnt(0)
	s_barrier
	ds_write2_b64 v12, v[0:1], v[2:3] offset0:1 offset1:2
	v_lshrrev_b32_e32 v0, 8, v8
	v_mov_b32_e32 v1, 3
	v_lshlrev_b32_sdwa v2, v1, v0 dst_sel:DWORD dst_unused:UNUSED_PAD src0_sel:DWORD src1_sel:BYTE_0
	v_and_b32_e32 v1, 1, v0
	v_add_co_u32_e32 v3, vcc, -1, v1
	v_addc_co_u32_e64 v7, s[24:25], 0, -1, vcc
	v_cmp_ne_u32_e32 vcc, 0, v1
	v_xor_b32_e32 v1, vcc_hi, v7
	v_lshlrev_b32_e32 v7, 30, v0
	v_xor_b32_e32 v3, vcc_lo, v3
	v_cmp_gt_i64_e32 vcc, 0, v[6:7]
	v_not_b32_e32 v7, v7
	v_ashrrev_i32_e32 v7, 31, v7
	v_and_b32_e32 v3, exec_lo, v3
	v_xor_b32_e32 v9, vcc_hi, v7
	v_xor_b32_e32 v7, vcc_lo, v7
	v_and_b32_e32 v3, v3, v7
	v_lshlrev_b32_e32 v7, 29, v0
	v_cmp_gt_i64_e32 vcc, 0, v[6:7]
	v_not_b32_e32 v7, v7
	v_and_b32_e32 v1, exec_hi, v1
	v_ashrrev_i32_e32 v7, 31, v7
	v_and_b32_e32 v1, v1, v9
	v_xor_b32_e32 v9, vcc_hi, v7
	v_xor_b32_e32 v7, vcc_lo, v7
	v_and_b32_e32 v3, v3, v7
	v_lshlrev_b32_e32 v7, 28, v0
	v_cmp_gt_i64_e32 vcc, 0, v[6:7]
	v_not_b32_e32 v7, v7
	v_ashrrev_i32_e32 v7, 31, v7
	v_and_b32_e32 v1, v1, v9
	v_xor_b32_e32 v9, vcc_hi, v7
	v_xor_b32_e32 v7, vcc_lo, v7
	v_and_b32_e32 v3, v3, v7
	v_lshlrev_b32_e32 v7, 27, v0
	v_cmp_gt_i64_e32 vcc, 0, v[6:7]
	v_not_b32_e32 v7, v7
	;; [unrolled: 8-line block ×5, first 2 shown]
	v_ashrrev_i32_e32 v0, 31, v0
	v_xor_b32_e32 v6, vcc_hi, v0
	v_xor_b32_e32 v0, vcc_lo, v0
	v_and_b32_e32 v1, v1, v9
	v_and_b32_e32 v0, v3, v0
	;; [unrolled: 1-line block ×3, first 2 shown]
	v_mbcnt_lo_u32_b32 v3, v0, 0
	v_mbcnt_hi_u32_b32 v7, v1, v3
	v_cmp_ne_u64_e32 vcc, 0, v[0:1]
	v_cmp_eq_u32_e64 s[24:25], 0, v7
	s_and_b64 s[26:27], vcc, s[24:25]
	v_add_u32_e32 v9, v17, v2
	s_waitcnt lgkmcnt(0)
	s_barrier
	; wave barrier
	s_and_saveexec_b64 s[24:25], s[26:27]
; %bb.24:
	v_bcnt_u32_b32 v0, v0, 0
	v_bcnt_u32_b32 v0, v1, v0
	ds_write_b32 v9, v0 offset:8
; %bb.25:
	s_or_b64 exec, exec, s[24:25]
	; wave barrier
	s_waitcnt lgkmcnt(0)
	s_barrier
	ds_read2_b64 v[0:3], v12 offset0:1 offset1:2
	s_waitcnt lgkmcnt(0)
	v_add_u32_e32 v6, v1, v0
	v_add3_u32 v3, v6, v2, v3
	s_nop 1
	v_mov_b32_dpp v6, v3 row_shr:1 row_mask:0xf bank_mask:0xf
	v_cndmask_b32_e64 v6, v6, 0, s[22:23]
	v_add_u32_e32 v3, v6, v3
	s_nop 1
	v_mov_b32_dpp v6, v3 row_shr:2 row_mask:0xf bank_mask:0xf
	v_cndmask_b32_e64 v6, 0, v6, s[20:21]
	v_add_u32_e32 v3, v3, v6
	;; [unrolled: 4-line block ×4, first 2 shown]
	s_nop 1
	v_mov_b32_dpp v6, v3 row_bcast:15 row_mask:0xf bank_mask:0xf
	v_cndmask_b32_e64 v6, v6, 0, s[14:15]
	v_add_u32_e32 v3, v3, v6
	s_nop 1
	v_mov_b32_dpp v6, v3 row_bcast:31 row_mask:0xf bank_mask:0xf
	v_cndmask_b32_e64 v6, 0, v6, s[10:11]
	v_add_u32_e32 v3, v3, v6
	s_and_saveexec_b64 s[24:25], s[12:13]
; %bb.26:
	ds_write_b32 v16, v3
; %bb.27:
	s_or_b64 exec, exec, s[24:25]
	s_waitcnt lgkmcnt(0)
	s_barrier
	s_and_saveexec_b64 s[24:25], s[6:7]
	s_cbranch_execz .LBB24_29
; %bb.28:
	v_add_u32_e32 v6, v12, v13
	ds_read_b32 v10, v6
	s_waitcnt lgkmcnt(0)
	s_nop 0
	v_mov_b32_dpp v11, v10 row_shr:1 row_mask:0xf bank_mask:0xf
	v_cndmask_b32_e64 v11, v11, 0, s[8:9]
	v_add_u32_e32 v10, v11, v10
	ds_write_b32 v6, v10
.LBB24_29:
	s_or_b64 exec, exec, s[24:25]
	v_mov_b32_e32 v6, 0
	v_mov_b32_e32 v10, 0
	s_waitcnt lgkmcnt(0)
	s_barrier
	s_and_saveexec_b64 s[24:25], s[4:5]
; %bb.30:
	ds_read_b32 v10, v15
; %bb.31:
	s_or_b64 exec, exec, s[24:25]
	s_waitcnt lgkmcnt(0)
	v_add_u32_e32 v3, v10, v3
	ds_bpermute_b32 v3, v14, v3
	s_mov_b32 s24, 0
	s_mov_b32 s26, s24
	;; [unrolled: 1-line block ×4, first 2 shown]
	s_waitcnt lgkmcnt(0)
	v_cndmask_b32_e64 v3, v3, v10, s[2:3]
	v_cndmask_b32_e64 v10, v3, 0, s[0:1]
	v_add_u32_e32 v11, v10, v0
	v_add_u32_e32 v0, v11, v1
	;; [unrolled: 1-line block ×3, first 2 shown]
	ds_write2_b64 v12, v[10:11], v[0:1] offset0:1 offset1:2
	s_waitcnt lgkmcnt(0)
	s_barrier
	ds_read_b32 v0, v9 offset:8
	v_lshlrev_b32_e32 v1, 2, v7
	s_waitcnt lgkmcnt(0)
	s_barrier
	v_lshl_add_u32 v0, v0, 2, v1
	ds_write_b32 v0, v8
	s_waitcnt lgkmcnt(0)
	s_barrier
	ds_read_b32 v8, v18
	v_mov_b32_e32 v0, s24
	v_mov_b32_e32 v2, s26
	v_mov_b32_e32 v1, s25
	v_mov_b32_e32 v3, s27
	s_movk_i32 s24, 0xff
	s_waitcnt lgkmcnt(0)
	s_barrier
	ds_write2_b64 v12, v[0:1], v[2:3] offset0:1 offset1:2
	v_and_b32_sdwa v0, v8, s24 dst_sel:DWORD dst_unused:UNUSED_PAD src0_sel:WORD_1 src1_sel:DWORD
	v_lshlrev_b32_e32 v2, 3, v0
	v_mov_b32_e32 v0, 1
	v_and_b32_sdwa v0, v8, v0 dst_sel:DWORD dst_unused:UNUSED_PAD src0_sel:WORD_1 src1_sel:DWORD
	v_add_co_u32_e32 v1, vcc, -1, v0
	v_addc_co_u32_e64 v3, s[24:25], 0, -1, vcc
	v_cmp_ne_u32_e32 vcc, 0, v0
	v_xor_b32_e32 v0, vcc_hi, v3
	v_mov_b32_e32 v3, 30
	v_lshlrev_b32_sdwa v7, v3, v8 dst_sel:DWORD dst_unused:UNUSED_PAD src0_sel:DWORD src1_sel:WORD_1
	v_xor_b32_e32 v1, vcc_lo, v1
	v_cmp_gt_i64_e32 vcc, 0, v[6:7]
	v_not_b32_e32 v3, v7
	v_ashrrev_i32_e32 v3, 31, v3
	v_and_b32_e32 v1, exec_lo, v1
	v_xor_b32_e32 v7, vcc_hi, v3
	v_xor_b32_e32 v3, vcc_lo, v3
	v_and_b32_e32 v0, exec_hi, v0
	v_and_b32_e32 v1, v1, v3
	v_mov_b32_e32 v3, 29
	v_and_b32_e32 v0, v0, v7
	v_lshlrev_b32_sdwa v7, v3, v8 dst_sel:DWORD dst_unused:UNUSED_PAD src0_sel:DWORD src1_sel:WORD_1
	v_cmp_gt_i64_e32 vcc, 0, v[6:7]
	v_not_b32_e32 v3, v7
	v_ashrrev_i32_e32 v3, 31, v3
	v_xor_b32_e32 v7, vcc_hi, v3
	v_xor_b32_e32 v3, vcc_lo, v3
	v_and_b32_e32 v1, v1, v3
	v_mov_b32_e32 v3, 28
	v_and_b32_e32 v0, v0, v7
	v_lshlrev_b32_sdwa v7, v3, v8 dst_sel:DWORD dst_unused:UNUSED_PAD src0_sel:DWORD src1_sel:WORD_1
	v_cmp_gt_i64_e32 vcc, 0, v[6:7]
	v_not_b32_e32 v3, v7
	v_ashrrev_i32_e32 v3, 31, v3
	v_xor_b32_e32 v7, vcc_hi, v3
	v_xor_b32_e32 v3, vcc_lo, v3
	v_and_b32_e32 v1, v1, v3
	v_mov_b32_e32 v3, 27
	v_and_b32_e32 v0, v0, v7
	v_lshlrev_b32_sdwa v7, v3, v8 dst_sel:DWORD dst_unused:UNUSED_PAD src0_sel:DWORD src1_sel:WORD_1
	v_cmp_gt_i64_e32 vcc, 0, v[6:7]
	v_not_b32_e32 v3, v7
	v_ashrrev_i32_e32 v3, 31, v3
	v_xor_b32_e32 v7, vcc_hi, v3
	v_xor_b32_e32 v3, vcc_lo, v3
	v_and_b32_e32 v1, v1, v3
	v_mov_b32_e32 v3, 26
	v_and_b32_e32 v0, v0, v7
	v_lshlrev_b32_sdwa v7, v3, v8 dst_sel:DWORD dst_unused:UNUSED_PAD src0_sel:DWORD src1_sel:WORD_1
	v_cmp_gt_i64_e32 vcc, 0, v[6:7]
	v_not_b32_e32 v3, v7
	v_ashrrev_i32_e32 v3, 31, v3
	v_xor_b32_e32 v7, vcc_hi, v3
	v_xor_b32_e32 v3, vcc_lo, v3
	v_and_b32_e32 v1, v1, v3
	v_mov_b32_e32 v3, 25
	v_and_b32_e32 v0, v0, v7
	v_lshlrev_b32_sdwa v7, v3, v8 dst_sel:DWORD dst_unused:UNUSED_PAD src0_sel:DWORD src1_sel:WORD_1
	v_cmp_gt_i64_e32 vcc, 0, v[6:7]
	v_not_b32_e32 v3, v7
	v_ashrrev_i32_e32 v3, 31, v3
	v_xor_b32_e32 v7, vcc_hi, v3
	v_xor_b32_e32 v3, vcc_lo, v3
	v_and_b32_e32 v3, v1, v3
	v_mov_b32_e32 v1, 24
	v_and_b32_e32 v0, v0, v7
	v_lshlrev_b32_sdwa v7, v1, v8 dst_sel:DWORD dst_unused:UNUSED_PAD src0_sel:DWORD src1_sel:WORD_1
	v_cmp_gt_i64_e32 vcc, 0, v[6:7]
	v_not_b32_e32 v1, v7
	v_ashrrev_i32_e32 v1, 31, v1
	v_xor_b32_e32 v6, vcc_hi, v1
	v_xor_b32_e32 v7, vcc_lo, v1
	v_and_b32_e32 v1, v0, v6
	v_and_b32_e32 v0, v3, v7
	v_mbcnt_lo_u32_b32 v3, v0, 0
	v_mbcnt_hi_u32_b32 v7, v1, v3
	v_cmp_ne_u64_e32 vcc, 0, v[0:1]
	v_cmp_eq_u32_e64 s[24:25], 0, v7
	s_and_b64 s[26:27], vcc, s[24:25]
	v_add_u32_e32 v9, v17, v2
	s_waitcnt lgkmcnt(0)
	s_barrier
	; wave barrier
	s_and_saveexec_b64 s[24:25], s[26:27]
; %bb.32:
	v_bcnt_u32_b32 v0, v0, 0
	v_bcnt_u32_b32 v0, v1, v0
	ds_write_b32 v9, v0 offset:8
; %bb.33:
	s_or_b64 exec, exec, s[24:25]
	; wave barrier
	s_waitcnt lgkmcnt(0)
	s_barrier
	ds_read2_b64 v[0:3], v12 offset0:1 offset1:2
	s_waitcnt lgkmcnt(0)
	v_add_u32_e32 v6, v1, v0
	v_add3_u32 v3, v6, v2, v3
	s_nop 1
	v_mov_b32_dpp v6, v3 row_shr:1 row_mask:0xf bank_mask:0xf
	v_cndmask_b32_e64 v6, v6, 0, s[22:23]
	v_add_u32_e32 v3, v6, v3
	s_nop 1
	v_mov_b32_dpp v6, v3 row_shr:2 row_mask:0xf bank_mask:0xf
	v_cndmask_b32_e64 v6, 0, v6, s[20:21]
	v_add_u32_e32 v3, v3, v6
	;; [unrolled: 4-line block ×4, first 2 shown]
	s_nop 1
	v_mov_b32_dpp v6, v3 row_bcast:15 row_mask:0xf bank_mask:0xf
	v_cndmask_b32_e64 v6, v6, 0, s[14:15]
	v_add_u32_e32 v3, v3, v6
	s_nop 1
	v_mov_b32_dpp v6, v3 row_bcast:31 row_mask:0xf bank_mask:0xf
	v_cndmask_b32_e64 v6, 0, v6, s[10:11]
	v_add_u32_e32 v3, v3, v6
	s_and_saveexec_b64 s[24:25], s[12:13]
; %bb.34:
	ds_write_b32 v16, v3
; %bb.35:
	s_or_b64 exec, exec, s[24:25]
	s_waitcnt lgkmcnt(0)
	s_barrier
	s_and_saveexec_b64 s[24:25], s[6:7]
	s_cbranch_execz .LBB24_37
; %bb.36:
	v_add_u32_e32 v6, v12, v13
	ds_read_b32 v10, v6
	s_waitcnt lgkmcnt(0)
	s_nop 0
	v_mov_b32_dpp v11, v10 row_shr:1 row_mask:0xf bank_mask:0xf
	v_cndmask_b32_e64 v11, v11, 0, s[8:9]
	v_add_u32_e32 v10, v11, v10
	ds_write_b32 v6, v10
.LBB24_37:
	s_or_b64 exec, exec, s[24:25]
	v_mov_b32_e32 v6, 0
	v_mov_b32_e32 v10, 0
	s_waitcnt lgkmcnt(0)
	s_barrier
	s_and_saveexec_b64 s[24:25], s[4:5]
; %bb.38:
	ds_read_b32 v10, v15
; %bb.39:
	s_or_b64 exec, exec, s[24:25]
	s_waitcnt lgkmcnt(0)
	v_add_u32_e32 v3, v10, v3
	ds_bpermute_b32 v3, v14, v3
	s_mov_b32 s24, 0
	s_mov_b32 s26, s24
	;; [unrolled: 1-line block ×4, first 2 shown]
	s_waitcnt lgkmcnt(0)
	v_cndmask_b32_e64 v3, v3, v10, s[2:3]
	v_cndmask_b32_e64 v10, v3, 0, s[0:1]
	v_add_u32_e32 v11, v10, v0
	v_add_u32_e32 v0, v11, v1
	;; [unrolled: 1-line block ×3, first 2 shown]
	ds_write2_b64 v12, v[10:11], v[0:1] offset0:1 offset1:2
	s_waitcnt lgkmcnt(0)
	s_barrier
	ds_read_b32 v0, v9 offset:8
	v_lshlrev_b32_e32 v1, 2, v7
	s_waitcnt lgkmcnt(0)
	s_barrier
	v_lshl_add_u32 v0, v0, 2, v1
	ds_write_b32 v0, v8
	s_waitcnt lgkmcnt(0)
	s_barrier
	ds_read_b32 v8, v18
	v_mov_b32_e32 v0, s24
	v_mov_b32_e32 v2, s26
	;; [unrolled: 1-line block ×4, first 2 shown]
	s_waitcnt lgkmcnt(0)
	s_barrier
	ds_write2_b64 v12, v[0:1], v[2:3] offset0:1 offset1:2
	v_mov_b32_e32 v0, 3
	v_lshlrev_b32_sdwa v2, v0, v8 dst_sel:DWORD dst_unused:UNUSED_PAD src0_sel:DWORD src1_sel:BYTE_3
	v_mov_b32_e32 v0, 1
	v_and_b32_sdwa v0, v8, v0 dst_sel:DWORD dst_unused:UNUSED_PAD src0_sel:BYTE_3 src1_sel:DWORD
	v_add_co_u32_e32 v1, vcc, -1, v0
	v_addc_co_u32_e64 v3, s[24:25], 0, -1, vcc
	v_cmp_ne_u32_e32 vcc, 0, v0
	v_xor_b32_e32 v0, vcc_hi, v3
	v_mov_b32_e32 v3, 30
	v_lshlrev_b32_sdwa v7, v3, v8 dst_sel:DWORD dst_unused:UNUSED_PAD src0_sel:DWORD src1_sel:BYTE_3
	v_xor_b32_e32 v1, vcc_lo, v1
	v_cmp_gt_i64_e32 vcc, 0, v[6:7]
	v_not_b32_e32 v3, v7
	v_ashrrev_i32_e32 v3, 31, v3
	v_and_b32_e32 v1, exec_lo, v1
	v_xor_b32_e32 v7, vcc_hi, v3
	v_xor_b32_e32 v3, vcc_lo, v3
	v_and_b32_e32 v0, exec_hi, v0
	v_and_b32_e32 v1, v1, v3
	v_mov_b32_e32 v3, 29
	v_and_b32_e32 v0, v0, v7
	v_lshlrev_b32_sdwa v7, v3, v8 dst_sel:DWORD dst_unused:UNUSED_PAD src0_sel:DWORD src1_sel:BYTE_3
	v_cmp_gt_i64_e32 vcc, 0, v[6:7]
	v_not_b32_e32 v3, v7
	v_ashrrev_i32_e32 v3, 31, v3
	v_xor_b32_e32 v7, vcc_hi, v3
	v_xor_b32_e32 v3, vcc_lo, v3
	v_and_b32_e32 v1, v1, v3
	v_mov_b32_e32 v3, 28
	v_and_b32_e32 v0, v0, v7
	v_lshlrev_b32_sdwa v7, v3, v8 dst_sel:DWORD dst_unused:UNUSED_PAD src0_sel:DWORD src1_sel:BYTE_3
	v_cmp_gt_i64_e32 vcc, 0, v[6:7]
	v_not_b32_e32 v3, v7
	v_ashrrev_i32_e32 v3, 31, v3
	v_xor_b32_e32 v7, vcc_hi, v3
	v_xor_b32_e32 v3, vcc_lo, v3
	v_and_b32_e32 v1, v1, v3
	v_mov_b32_e32 v3, 27
	v_and_b32_e32 v0, v0, v7
	v_lshlrev_b32_sdwa v7, v3, v8 dst_sel:DWORD dst_unused:UNUSED_PAD src0_sel:DWORD src1_sel:BYTE_3
	v_cmp_gt_i64_e32 vcc, 0, v[6:7]
	v_not_b32_e32 v3, v7
	v_ashrrev_i32_e32 v3, 31, v3
	v_xor_b32_e32 v7, vcc_hi, v3
	v_xor_b32_e32 v3, vcc_lo, v3
	v_and_b32_e32 v1, v1, v3
	v_mov_b32_e32 v3, 26
	v_and_b32_e32 v0, v0, v7
	v_lshlrev_b32_sdwa v7, v3, v8 dst_sel:DWORD dst_unused:UNUSED_PAD src0_sel:DWORD src1_sel:BYTE_3
	v_cmp_gt_i64_e32 vcc, 0, v[6:7]
	v_not_b32_e32 v3, v7
	v_ashrrev_i32_e32 v3, 31, v3
	v_xor_b32_e32 v7, vcc_hi, v3
	v_xor_b32_e32 v3, vcc_lo, v3
	v_and_b32_e32 v1, v1, v3
	v_mov_b32_e32 v3, 25
	v_and_b32_e32 v0, v0, v7
	v_lshlrev_b32_sdwa v7, v3, v8 dst_sel:DWORD dst_unused:UNUSED_PAD src0_sel:DWORD src1_sel:BYTE_3
	v_cmp_gt_i64_e32 vcc, 0, v[6:7]
	v_not_b32_e32 v3, v7
	v_ashrrev_i32_e32 v3, 31, v3
	v_xor_b32_e32 v7, vcc_hi, v3
	v_xor_b32_e32 v3, vcc_lo, v3
	v_and_b32_e32 v3, v1, v3
	v_mov_b32_e32 v1, 24
	v_and_b32_e32 v0, v0, v7
	v_lshlrev_b32_sdwa v7, v1, v8 dst_sel:DWORD dst_unused:UNUSED_PAD src0_sel:DWORD src1_sel:BYTE_3
	v_cmp_gt_i64_e32 vcc, 0, v[6:7]
	v_not_b32_e32 v1, v7
	v_ashrrev_i32_e32 v1, 31, v1
	v_xor_b32_e32 v6, vcc_hi, v1
	v_xor_b32_e32 v7, vcc_lo, v1
	v_and_b32_e32 v1, v0, v6
	v_and_b32_e32 v0, v3, v7
	v_mbcnt_lo_u32_b32 v3, v0, 0
	v_mbcnt_hi_u32_b32 v6, v1, v3
	v_cmp_ne_u64_e32 vcc, 0, v[0:1]
	v_cmp_eq_u32_e64 s[24:25], 0, v6
	s_and_b64 s[26:27], vcc, s[24:25]
	v_add_u32_e32 v7, v17, v2
	s_waitcnt lgkmcnt(0)
	s_barrier
	; wave barrier
	s_and_saveexec_b64 s[24:25], s[26:27]
; %bb.40:
	v_bcnt_u32_b32 v0, v0, 0
	v_bcnt_u32_b32 v0, v1, v0
	ds_write_b32 v7, v0 offset:8
; %bb.41:
	s_or_b64 exec, exec, s[24:25]
	; wave barrier
	s_waitcnt lgkmcnt(0)
	s_barrier
	ds_read2_b64 v[0:3], v12 offset0:1 offset1:2
	s_waitcnt lgkmcnt(0)
	v_add_u32_e32 v9, v1, v0
	v_add3_u32 v3, v9, v2, v3
	s_nop 1
	v_mov_b32_dpp v9, v3 row_shr:1 row_mask:0xf bank_mask:0xf
	v_cndmask_b32_e64 v9, v9, 0, s[22:23]
	v_add_u32_e32 v3, v9, v3
	s_nop 1
	v_mov_b32_dpp v9, v3 row_shr:2 row_mask:0xf bank_mask:0xf
	v_cndmask_b32_e64 v9, 0, v9, s[20:21]
	v_add_u32_e32 v3, v3, v9
	;; [unrolled: 4-line block ×4, first 2 shown]
	s_nop 1
	v_mov_b32_dpp v9, v3 row_bcast:15 row_mask:0xf bank_mask:0xf
	v_cndmask_b32_e64 v9, v9, 0, s[14:15]
	v_add_u32_e32 v3, v3, v9
	s_nop 1
	v_mov_b32_dpp v9, v3 row_bcast:31 row_mask:0xf bank_mask:0xf
	v_cndmask_b32_e64 v9, 0, v9, s[10:11]
	v_add_u32_e32 v3, v3, v9
	s_and_saveexec_b64 s[10:11], s[12:13]
; %bb.42:
	ds_write_b32 v16, v3
; %bb.43:
	s_or_b64 exec, exec, s[10:11]
	s_waitcnt lgkmcnt(0)
	s_barrier
	s_and_saveexec_b64 s[10:11], s[6:7]
	s_cbranch_execz .LBB24_45
; %bb.44:
	v_add_u32_e32 v9, v12, v13
	ds_read_b32 v10, v9
	s_waitcnt lgkmcnt(0)
	s_nop 0
	v_mov_b32_dpp v11, v10 row_shr:1 row_mask:0xf bank_mask:0xf
	v_cndmask_b32_e64 v11, v11, 0, s[8:9]
	v_add_u32_e32 v10, v11, v10
	ds_write_b32 v9, v10
.LBB24_45:
	s_or_b64 exec, exec, s[10:11]
	v_mov_b32_e32 v9, 0
	s_waitcnt lgkmcnt(0)
	s_barrier
	s_and_saveexec_b64 s[6:7], s[4:5]
; %bb.46:
	ds_read_b32 v9, v15
; %bb.47:
	s_or_b64 exec, exec, s[6:7]
	s_waitcnt lgkmcnt(0)
	v_add_u32_e32 v3, v9, v3
	ds_bpermute_b32 v3, v14, v3
	s_waitcnt lgkmcnt(0)
	v_cndmask_b32_e64 v3, v3, v9, s[2:3]
	v_cndmask_b32_e64 v9, v3, 0, s[0:1]
	v_add_u32_e32 v10, v9, v0
	v_add_u32_e32 v0, v10, v1
	;; [unrolled: 1-line block ×3, first 2 shown]
	ds_write2_b64 v12, v[9:10], v[0:1] offset0:1 offset1:2
	s_waitcnt lgkmcnt(0)
	s_barrier
	ds_read_b32 v0, v7 offset:8
	v_lshlrev_b32_e32 v1, 2, v6
	s_waitcnt lgkmcnt(0)
	s_barrier
	v_lshl_add_u32 v0, v0, 2, v1
	ds_write_b32 v0, v8
	s_waitcnt lgkmcnt(0)
	s_barrier
.LBB24_48:
	v_add_u32_e32 v0, v12, v13
	ds_read_b32 v0, v0
	s_waitcnt lgkmcnt(0)
	v_xor_b32_e32 v0, 0x80000000, v0
	global_store_dword v[4:5], v0, off
	s_endpgm
	.section	.rodata,"a",@progbits
	.p2align	6, 0x0
	.amdhsa_kernel _Z15sort_key_kernelILj128ELj1ELb0ELb0EiEvPT3_jj
		.amdhsa_group_segment_fixed_size 2064
		.amdhsa_private_segment_fixed_size 0
		.amdhsa_kernarg_size 272
		.amdhsa_user_sgpr_count 6
		.amdhsa_user_sgpr_private_segment_buffer 1
		.amdhsa_user_sgpr_dispatch_ptr 0
		.amdhsa_user_sgpr_queue_ptr 0
		.amdhsa_user_sgpr_kernarg_segment_ptr 1
		.amdhsa_user_sgpr_dispatch_id 0
		.amdhsa_user_sgpr_flat_scratch_init 0
		.amdhsa_user_sgpr_private_segment_size 0
		.amdhsa_uses_dynamic_stack 0
		.amdhsa_system_sgpr_private_segment_wavefront_offset 0
		.amdhsa_system_sgpr_workgroup_id_x 1
		.amdhsa_system_sgpr_workgroup_id_y 0
		.amdhsa_system_sgpr_workgroup_id_z 0
		.amdhsa_system_sgpr_workgroup_info 0
		.amdhsa_system_vgpr_workitem_id 2
		.amdhsa_next_free_vgpr 29
		.amdhsa_next_free_sgpr 61
		.amdhsa_reserve_vcc 1
		.amdhsa_reserve_flat_scratch 0
		.amdhsa_float_round_mode_32 0
		.amdhsa_float_round_mode_16_64 0
		.amdhsa_float_denorm_mode_32 3
		.amdhsa_float_denorm_mode_16_64 3
		.amdhsa_dx10_clamp 1
		.amdhsa_ieee_mode 1
		.amdhsa_fp16_overflow 0
		.amdhsa_exception_fp_ieee_invalid_op 0
		.amdhsa_exception_fp_denorm_src 0
		.amdhsa_exception_fp_ieee_div_zero 0
		.amdhsa_exception_fp_ieee_overflow 0
		.amdhsa_exception_fp_ieee_underflow 0
		.amdhsa_exception_fp_ieee_inexact 0
		.amdhsa_exception_int_div_zero 0
	.end_amdhsa_kernel
	.section	.text._Z15sort_key_kernelILj128ELj1ELb0ELb0EiEvPT3_jj,"axG",@progbits,_Z15sort_key_kernelILj128ELj1ELb0ELb0EiEvPT3_jj,comdat
.Lfunc_end24:
	.size	_Z15sort_key_kernelILj128ELj1ELb0ELb0EiEvPT3_jj, .Lfunc_end24-_Z15sort_key_kernelILj128ELj1ELb0ELb0EiEvPT3_jj
                                        ; -- End function
	.set _Z15sort_key_kernelILj128ELj1ELb0ELb0EiEvPT3_jj.num_vgpr, 27
	.set _Z15sort_key_kernelILj128ELj1ELb0ELb0EiEvPT3_jj.num_agpr, 0
	.set _Z15sort_key_kernelILj128ELj1ELb0ELb0EiEvPT3_jj.numbered_sgpr, 36
	.set _Z15sort_key_kernelILj128ELj1ELb0ELb0EiEvPT3_jj.num_named_barrier, 0
	.set _Z15sort_key_kernelILj128ELj1ELb0ELb0EiEvPT3_jj.private_seg_size, 0
	.set _Z15sort_key_kernelILj128ELj1ELb0ELb0EiEvPT3_jj.uses_vcc, 1
	.set _Z15sort_key_kernelILj128ELj1ELb0ELb0EiEvPT3_jj.uses_flat_scratch, 0
	.set _Z15sort_key_kernelILj128ELj1ELb0ELb0EiEvPT3_jj.has_dyn_sized_stack, 0
	.set _Z15sort_key_kernelILj128ELj1ELb0ELb0EiEvPT3_jj.has_recursion, 0
	.set _Z15sort_key_kernelILj128ELj1ELb0ELb0EiEvPT3_jj.has_indirect_call, 0
	.section	.AMDGPU.csdata,"",@progbits
; Kernel info:
; codeLenInByte = 4596
; TotalNumSgprs: 40
; NumVgprs: 27
; ScratchSize: 0
; MemoryBound: 0
; FloatMode: 240
; IeeeMode: 1
; LDSByteSize: 2064 bytes/workgroup (compile time only)
; SGPRBlocks: 8
; VGPRBlocks: 7
; NumSGPRsForWavesPerEU: 65
; NumVGPRsForWavesPerEU: 29
; Occupancy: 8
; WaveLimiterHint : 0
; COMPUTE_PGM_RSRC2:SCRATCH_EN: 0
; COMPUTE_PGM_RSRC2:USER_SGPR: 6
; COMPUTE_PGM_RSRC2:TRAP_HANDLER: 0
; COMPUTE_PGM_RSRC2:TGID_X_EN: 1
; COMPUTE_PGM_RSRC2:TGID_Y_EN: 0
; COMPUTE_PGM_RSRC2:TGID_Z_EN: 0
; COMPUTE_PGM_RSRC2:TIDIG_COMP_CNT: 2
	.section	.text._Z15sort_key_kernelILj64ELj1ELb0ELb0EjEvPT3_jj,"axG",@progbits,_Z15sort_key_kernelILj64ELj1ELb0ELb0EjEvPT3_jj,comdat
	.protected	_Z15sort_key_kernelILj64ELj1ELb0ELb0EjEvPT3_jj ; -- Begin function _Z15sort_key_kernelILj64ELj1ELb0ELb0EjEvPT3_jj
	.globl	_Z15sort_key_kernelILj64ELj1ELb0ELb0EjEvPT3_jj
	.p2align	8
	.type	_Z15sort_key_kernelILj64ELj1ELb0ELb0EjEvPT3_jj,@function
_Z15sort_key_kernelILj64ELj1ELb0ELb0EjEvPT3_jj: ; @_Z15sort_key_kernelILj64ELj1ELb0ELb0EjEvPT3_jj
; %bb.0:
	s_load_dwordx4 s[16:19], s[4:5], 0x0
	s_load_dword s7, s[4:5], 0x1c
	s_lshl_b32 s0, s6, 6
	s_mov_b32 s1, 0
	s_lshl_b64 s[0:1], s[0:1], 2
	s_waitcnt lgkmcnt(0)
	s_add_u32 s0, s16, s0
	s_addc_u32 s1, s17, s1
	v_lshlrev_b32_e32 v8, 2, v0
	global_load_dword v12, v8, s[0:1]
	s_cmp_eq_u32 s18, 0
	v_mbcnt_lo_u32_b32 v6, -1, 0
	v_mov_b32_e32 v4, s1
	v_add_co_u32_e32 v3, vcc, s0, v8
	s_cselect_b64 s[0:1], -1, 0
	s_cmp_eq_u32 s19, 32
	v_mbcnt_hi_u32_b32 v6, -1, v6
	s_cselect_b64 s[2:3], -1, 0
	v_and_b32_e32 v7, 15, v6
	v_addc_co_u32_e32 v4, vcc, 0, v4, vcc
	s_and_b64 s[20:21], s[0:1], s[2:3]
	s_lshr_b32 s0, s7, 16
	s_and_b32 s1, s7, 0xffff
	v_cmp_eq_u32_e64 s[12:13], 0, v7
	v_cmp_lt_u32_e64 s[10:11], 1, v7
	v_cmp_lt_u32_e64 s[8:9], 3, v7
	;; [unrolled: 1-line block ×3, first 2 shown]
	v_and_b32_e32 v7, 16, v6
	v_mad_u32_u24 v1, v2, s0, v1
	v_cmp_eq_u32_e64 s[4:5], 0, v7
	v_subrev_co_u32_e32 v7, vcc, 1, v6
	v_and_b32_e32 v9, 64, v6
	v_mad_u32_u24 v1, v1, s1, v0
	v_cmp_lt_i32_e64 s[14:15], v7, v9
	v_lshrrev_b32_e32 v1, 6, v1
	v_cndmask_b32_e64 v7, v7, v6, s[14:15]
	v_cmp_eq_u32_e64 s[14:15], 0, v0
	v_mov_b32_e32 v5, 0
	v_lshlrev_b32_e32 v2, 4, v0
	v_cmp_lt_u32_e64 s[2:3], 31, v6
	v_cmp_eq_u32_e64 s[0:1], 63, v0
	v_lshlrev_b32_e32 v9, 2, v7
	s_or_b64 s[16:17], s[14:15], vcc
	v_lshlrev_b32_e32 v11, 2, v6
	s_mov_b64 s[14:15], -1
	s_and_b64 vcc, exec, s[20:21]
	v_lshlrev_b32_e32 v10, 2, v1
	s_cbranch_vccz .LBB25_3
; %bb.1:
	s_and_b64 vcc, exec, s[14:15]
	s_cbranch_vccnz .LBB25_12
.LBB25_2:
	ds_read_b32 v0, v8
	s_waitcnt lgkmcnt(0)
	global_store_dword v[3:4], v0, off
	s_endpgm
.LBB25_3:
	s_sub_i32 s14, s19, s18
	v_mov_b32_e32 v13, s14
	s_waitcnt vmcnt(0)
	v_mov_b32_e32 v1, v12
	s_branch .LBB25_5
.LBB25_4:                               ;   in Loop: Header=BB25_5 Depth=1
	s_andn2_b64 vcc, exec, s[14:15]
	s_cbranch_vccz .LBB25_11
.LBB25_5:                               ; =>This Inner Loop Header: Depth=1
	v_mov_b32_e32 v14, v1
	v_min_u32_e32 v0, 8, v13
	v_lshrrev_b32_e32 v1, s18, v14
	v_bfe_u32 v0, v1, 0, v0
	v_and_b32_e32 v1, 1, v0
	v_add_co_u32_e32 v6, vcc, -1, v1
	v_addc_co_u32_e64 v7, s[14:15], 0, -1, vcc
	v_cmp_ne_u32_e32 vcc, 0, v1
	v_xor_b32_e32 v6, vcc_lo, v6
	v_xor_b32_e32 v1, vcc_hi, v7
	v_and_b32_e32 v7, exec_lo, v6
	v_lshlrev_b32_e32 v6, 30, v0
	v_cmp_gt_i64_e32 vcc, 0, v[5:6]
	v_not_b32_e32 v6, v6
	v_ashrrev_i32_e32 v6, 31, v6
	v_xor_b32_e32 v16, vcc_hi, v6
	v_xor_b32_e32 v6, vcc_lo, v6
	v_and_b32_e32 v7, v7, v6
	v_lshlrev_b32_e32 v6, 29, v0
	v_cmp_gt_i64_e32 vcc, 0, v[5:6]
	v_not_b32_e32 v6, v6
	v_and_b32_e32 v1, exec_hi, v1
	v_ashrrev_i32_e32 v6, 31, v6
	v_and_b32_e32 v1, v1, v16
	v_xor_b32_e32 v16, vcc_hi, v6
	v_xor_b32_e32 v6, vcc_lo, v6
	v_and_b32_e32 v7, v7, v6
	v_lshlrev_b32_e32 v6, 28, v0
	v_cmp_gt_i64_e32 vcc, 0, v[5:6]
	v_not_b32_e32 v6, v6
	v_ashrrev_i32_e32 v6, 31, v6
	v_and_b32_e32 v1, v1, v16
	v_xor_b32_e32 v16, vcc_hi, v6
	v_xor_b32_e32 v6, vcc_lo, v6
	v_and_b32_e32 v7, v7, v6
	v_lshlrev_b32_e32 v6, 27, v0
	v_cmp_gt_i64_e32 vcc, 0, v[5:6]
	v_not_b32_e32 v6, v6
	;; [unrolled: 8-line block ×4, first 2 shown]
	v_ashrrev_i32_e32 v6, 31, v6
	v_and_b32_e32 v1, v1, v16
	v_xor_b32_e32 v16, vcc_hi, v6
	v_xor_b32_e32 v6, vcc_lo, v6
	v_and_b32_e32 v7, v7, v6
	v_lshlrev_b32_e32 v6, 24, v0
	v_lshl_add_u32 v15, v0, 2, v10
	v_cmp_gt_i64_e32 vcc, 0, v[5:6]
	v_not_b32_e32 v0, v6
	v_ashrrev_i32_e32 v0, 31, v0
	v_xor_b32_e32 v6, vcc_hi, v0
	v_xor_b32_e32 v0, vcc_lo, v0
	v_and_b32_e32 v1, v1, v16
	v_and_b32_e32 v0, v7, v0
	;; [unrolled: 1-line block ×3, first 2 shown]
	v_mbcnt_lo_u32_b32 v6, v0, 0
	v_mbcnt_hi_u32_b32 v16, v1, v6
	v_cmp_ne_u64_e32 vcc, 0, v[0:1]
	v_cmp_eq_u32_e64 s[14:15], 0, v16
	s_and_b64 s[20:21], vcc, s[14:15]
	ds_write2_b32 v2, v5, v5 offset0:1 offset1:2
	ds_write2_b32 v2, v5, v5 offset0:3 offset1:4
	s_waitcnt lgkmcnt(0)
	; wave barrier
	; wave barrier
	s_and_saveexec_b64 s[14:15], s[20:21]
; %bb.6:                                ;   in Loop: Header=BB25_5 Depth=1
	v_bcnt_u32_b32 v0, v0, 0
	v_bcnt_u32_b32 v0, v1, v0
	ds_write_b32 v15, v0 offset:4
; %bb.7:                                ;   in Loop: Header=BB25_5 Depth=1
	s_or_b64 exec, exec, s[14:15]
	; wave barrier
	s_waitcnt lgkmcnt(0)
	; wave barrier
	ds_read2_b32 v[6:7], v2 offset0:1 offset1:2
	ds_read2_b32 v[0:1], v2 offset0:3 offset1:4
	s_waitcnt lgkmcnt(1)
	v_add_u32_e32 v17, v7, v6
	s_waitcnt lgkmcnt(0)
	v_add3_u32 v1, v17, v0, v1
	s_nop 1
	v_mov_b32_dpp v17, v1 row_shr:1 row_mask:0xf bank_mask:0xf
	v_cndmask_b32_e64 v17, v17, 0, s[12:13]
	v_add_u32_e32 v1, v17, v1
	s_nop 1
	v_mov_b32_dpp v17, v1 row_shr:2 row_mask:0xf bank_mask:0xf
	v_cndmask_b32_e64 v17, 0, v17, s[10:11]
	v_add_u32_e32 v1, v1, v17
	;; [unrolled: 4-line block ×4, first 2 shown]
	s_nop 1
	v_mov_b32_dpp v17, v1 row_bcast:15 row_mask:0xf bank_mask:0xf
	v_cndmask_b32_e64 v17, v17, 0, s[4:5]
	v_add_u32_e32 v1, v1, v17
	s_nop 1
	v_mov_b32_dpp v17, v1 row_bcast:31 row_mask:0xf bank_mask:0xf
	v_cndmask_b32_e64 v17, 0, v17, s[2:3]
	v_add_u32_e32 v1, v1, v17
	s_and_saveexec_b64 s[14:15], s[0:1]
; %bb.8:                                ;   in Loop: Header=BB25_5 Depth=1
	ds_write_b32 v5, v1
; %bb.9:                                ;   in Loop: Header=BB25_5 Depth=1
	s_or_b64 exec, exec, s[14:15]
	ds_bpermute_b32 v1, v9, v1
	s_waitcnt lgkmcnt(0)
	; wave barrier
	s_add_i32 s18, s18, 8
	s_cmp_ge_u32 s18, s19
	v_cndmask_b32_e64 v1, v1, 0, s[16:17]
	v_add_u32_e32 v6, v1, v6
	v_add_u32_e32 v7, v6, v7
	;; [unrolled: 1-line block ×3, first 2 shown]
	ds_write2_b32 v2, v1, v6 offset0:1 offset1:2
	ds_write2_b32 v2, v7, v0 offset0:3 offset1:4
	s_waitcnt lgkmcnt(0)
	; wave barrier
	ds_read_b32 v0, v15 offset:4
	v_lshlrev_b32_e32 v1, 2, v16
	s_mov_b64 s[14:15], -1
	s_waitcnt lgkmcnt(0)
	v_lshl_add_u32 v0, v0, 2, v1
                                        ; implicit-def: $vgpr1
	s_cbranch_scc1 .LBB25_4
; %bb.10:                               ;   in Loop: Header=BB25_5 Depth=1
	; wave barrier
	ds_write_b32 v0, v14
	s_waitcnt lgkmcnt(0)
	; wave barrier
	ds_read_b32 v1, v11
	v_add_u32_e32 v13, -8, v13
	s_mov_b64 s[14:15], 0
	s_waitcnt lgkmcnt(0)
	; wave barrier
	s_branch .LBB25_4
.LBB25_11:
	; wave barrier
	ds_write_b32 v0, v14
	s_waitcnt lgkmcnt(0)
	; wave barrier
	s_branch .LBB25_2
.LBB25_12:
	s_waitcnt vmcnt(0)
	v_and_b32_e32 v1, 0xff, v12
	v_lshl_add_u32 v7, v1, 2, v10
	v_and_b32_e32 v1, 1, v12
	v_add_co_u32_e32 v5, vcc, -1, v1
	v_addc_co_u32_e64 v6, s[14:15], 0, -1, vcc
	v_cmp_ne_u32_e32 vcc, 0, v1
	v_xor_b32_e32 v1, vcc_hi, v6
	v_mov_b32_e32 v0, 0
	v_and_b32_e32 v6, exec_hi, v1
	v_lshlrev_b32_e32 v1, 30, v12
	v_xor_b32_e32 v5, vcc_lo, v5
	v_cmp_gt_i64_e32 vcc, 0, v[0:1]
	v_not_b32_e32 v1, v1
	v_ashrrev_i32_e32 v1, 31, v1
	v_and_b32_e32 v5, exec_lo, v5
	v_xor_b32_e32 v13, vcc_hi, v1
	v_xor_b32_e32 v1, vcc_lo, v1
	v_and_b32_e32 v5, v5, v1
	v_lshlrev_b32_e32 v1, 29, v12
	v_cmp_gt_i64_e32 vcc, 0, v[0:1]
	v_not_b32_e32 v1, v1
	v_ashrrev_i32_e32 v1, 31, v1
	v_and_b32_e32 v6, v6, v13
	v_xor_b32_e32 v13, vcc_hi, v1
	v_xor_b32_e32 v1, vcc_lo, v1
	v_and_b32_e32 v5, v5, v1
	v_lshlrev_b32_e32 v1, 28, v12
	v_cmp_gt_i64_e32 vcc, 0, v[0:1]
	v_not_b32_e32 v1, v1
	v_ashrrev_i32_e32 v1, 31, v1
	v_and_b32_e32 v6, v6, v13
	;; [unrolled: 8-line block ×5, first 2 shown]
	v_xor_b32_e32 v13, vcc_hi, v1
	v_xor_b32_e32 v1, vcc_lo, v1
	v_and_b32_e32 v5, v5, v1
	v_lshlrev_b32_e32 v1, 24, v12
	ds_write2_b32 v2, v0, v0 offset0:1 offset1:2
	ds_write2_b32 v2, v0, v0 offset0:3 offset1:4
	v_cmp_gt_i64_e32 vcc, 0, v[0:1]
	v_not_b32_e32 v0, v1
	v_ashrrev_i32_e32 v0, 31, v0
	v_xor_b32_e32 v1, vcc_hi, v0
	v_xor_b32_e32 v0, vcc_lo, v0
	v_and_b32_e32 v6, v6, v13
	v_and_b32_e32 v0, v5, v0
	;; [unrolled: 1-line block ×3, first 2 shown]
	v_mbcnt_lo_u32_b32 v5, v0, 0
	v_mbcnt_hi_u32_b32 v13, v1, v5
	v_cmp_ne_u64_e32 vcc, 0, v[0:1]
	v_cmp_eq_u32_e64 s[14:15], 0, v13
	s_and_b64 s[18:19], vcc, s[14:15]
	s_waitcnt lgkmcnt(0)
	; wave barrier
	; wave barrier
	s_and_saveexec_b64 s[14:15], s[18:19]
; %bb.13:
	v_bcnt_u32_b32 v0, v0, 0
	v_bcnt_u32_b32 v0, v1, v0
	ds_write_b32 v7, v0 offset:4
; %bb.14:
	s_or_b64 exec, exec, s[14:15]
	; wave barrier
	s_waitcnt lgkmcnt(0)
	; wave barrier
	ds_read2_b32 v[5:6], v2 offset0:1 offset1:2
	ds_read2_b32 v[0:1], v2 offset0:3 offset1:4
	s_waitcnt lgkmcnt(1)
	v_add_u32_e32 v14, v6, v5
	s_waitcnt lgkmcnt(0)
	v_add3_u32 v1, v14, v0, v1
	s_nop 1
	v_mov_b32_dpp v14, v1 row_shr:1 row_mask:0xf bank_mask:0xf
	v_cndmask_b32_e64 v14, v14, 0, s[12:13]
	v_add_u32_e32 v1, v14, v1
	s_nop 1
	v_mov_b32_dpp v14, v1 row_shr:2 row_mask:0xf bank_mask:0xf
	v_cndmask_b32_e64 v14, 0, v14, s[10:11]
	v_add_u32_e32 v1, v1, v14
	;; [unrolled: 4-line block ×4, first 2 shown]
	s_nop 1
	v_mov_b32_dpp v14, v1 row_bcast:15 row_mask:0xf bank_mask:0xf
	v_cndmask_b32_e64 v14, v14, 0, s[4:5]
	v_add_u32_e32 v1, v1, v14
	s_nop 1
	v_mov_b32_dpp v14, v1 row_bcast:31 row_mask:0xf bank_mask:0xf
	v_cndmask_b32_e64 v14, 0, v14, s[2:3]
	v_add_u32_e32 v1, v1, v14
	s_and_saveexec_b64 s[14:15], s[0:1]
; %bb.15:
	v_mov_b32_e32 v14, 0
	ds_write_b32 v14, v1
; %bb.16:
	s_or_b64 exec, exec, s[14:15]
	ds_bpermute_b32 v1, v9, v1
	s_waitcnt lgkmcnt(0)
	; wave barrier
	v_cndmask_b32_e64 v1, v1, 0, s[16:17]
	v_add_u32_e32 v5, v1, v5
	v_add_u32_e32 v6, v5, v6
	;; [unrolled: 1-line block ×3, first 2 shown]
	ds_write2_b32 v2, v1, v5 offset0:1 offset1:2
	ds_write2_b32 v2, v6, v0 offset0:3 offset1:4
	s_waitcnt lgkmcnt(0)
	; wave barrier
	ds_read_b32 v0, v7 offset:4
	v_lshlrev_b32_e32 v1, 2, v13
	s_waitcnt lgkmcnt(0)
	; wave barrier
	v_lshl_add_u32 v0, v0, 2, v1
	ds_write_b32 v0, v12
	s_waitcnt lgkmcnt(0)
	; wave barrier
	ds_read_b32 v7, v11
	v_mov_b32_e32 v0, 0
	s_waitcnt lgkmcnt(0)
	; wave barrier
	ds_write2_b32 v2, v0, v0 offset0:1 offset1:2
	ds_write2_b32 v2, v0, v0 offset0:3 offset1:4
	v_lshrrev_b32_e32 v5, 8, v7
	v_and_b32_e32 v1, 0xff, v5
	v_lshl_add_u32 v12, v1, 2, v10
	v_and_b32_e32 v1, 1, v5
	v_add_co_u32_e32 v6, vcc, -1, v1
	v_addc_co_u32_e64 v13, s[14:15], 0, -1, vcc
	v_cmp_ne_u32_e32 vcc, 0, v1
	v_xor_b32_e32 v1, vcc_hi, v13
	v_and_b32_e32 v13, exec_hi, v1
	v_lshlrev_b32_e32 v1, 30, v5
	v_xor_b32_e32 v6, vcc_lo, v6
	v_cmp_gt_i64_e32 vcc, 0, v[0:1]
	v_not_b32_e32 v1, v1
	v_ashrrev_i32_e32 v1, 31, v1
	v_and_b32_e32 v6, exec_lo, v6
	v_xor_b32_e32 v14, vcc_hi, v1
	v_xor_b32_e32 v1, vcc_lo, v1
	v_and_b32_e32 v6, v6, v1
	v_lshlrev_b32_e32 v1, 29, v5
	v_cmp_gt_i64_e32 vcc, 0, v[0:1]
	v_not_b32_e32 v1, v1
	v_ashrrev_i32_e32 v1, 31, v1
	v_and_b32_e32 v13, v13, v14
	v_xor_b32_e32 v14, vcc_hi, v1
	v_xor_b32_e32 v1, vcc_lo, v1
	v_and_b32_e32 v6, v6, v1
	v_lshlrev_b32_e32 v1, 28, v5
	v_cmp_gt_i64_e32 vcc, 0, v[0:1]
	v_not_b32_e32 v1, v1
	v_ashrrev_i32_e32 v1, 31, v1
	v_and_b32_e32 v13, v13, v14
	;; [unrolled: 8-line block ×5, first 2 shown]
	v_xor_b32_e32 v14, vcc_hi, v1
	v_xor_b32_e32 v1, vcc_lo, v1
	v_and_b32_e32 v6, v6, v1
	v_lshlrev_b32_e32 v1, 24, v5
	v_cmp_gt_i64_e32 vcc, 0, v[0:1]
	v_not_b32_e32 v0, v1
	v_ashrrev_i32_e32 v0, 31, v0
	v_xor_b32_e32 v1, vcc_hi, v0
	v_xor_b32_e32 v0, vcc_lo, v0
	v_and_b32_e32 v13, v13, v14
	v_and_b32_e32 v0, v6, v0
	;; [unrolled: 1-line block ×3, first 2 shown]
	v_mbcnt_lo_u32_b32 v5, v0, 0
	v_mbcnt_hi_u32_b32 v13, v1, v5
	v_cmp_ne_u64_e32 vcc, 0, v[0:1]
	v_cmp_eq_u32_e64 s[14:15], 0, v13
	s_and_b64 s[18:19], vcc, s[14:15]
	s_waitcnt lgkmcnt(0)
	; wave barrier
	; wave barrier
	s_and_saveexec_b64 s[14:15], s[18:19]
; %bb.17:
	v_bcnt_u32_b32 v0, v0, 0
	v_bcnt_u32_b32 v0, v1, v0
	ds_write_b32 v12, v0 offset:4
; %bb.18:
	s_or_b64 exec, exec, s[14:15]
	; wave barrier
	s_waitcnt lgkmcnt(0)
	; wave barrier
	ds_read2_b32 v[5:6], v2 offset0:1 offset1:2
	ds_read2_b32 v[0:1], v2 offset0:3 offset1:4
	s_waitcnt lgkmcnt(1)
	v_add_u32_e32 v14, v6, v5
	s_waitcnt lgkmcnt(0)
	v_add3_u32 v1, v14, v0, v1
	s_nop 1
	v_mov_b32_dpp v14, v1 row_shr:1 row_mask:0xf bank_mask:0xf
	v_cndmask_b32_e64 v14, v14, 0, s[12:13]
	v_add_u32_e32 v1, v14, v1
	s_nop 1
	v_mov_b32_dpp v14, v1 row_shr:2 row_mask:0xf bank_mask:0xf
	v_cndmask_b32_e64 v14, 0, v14, s[10:11]
	v_add_u32_e32 v1, v1, v14
	;; [unrolled: 4-line block ×4, first 2 shown]
	s_nop 1
	v_mov_b32_dpp v14, v1 row_bcast:15 row_mask:0xf bank_mask:0xf
	v_cndmask_b32_e64 v14, v14, 0, s[4:5]
	v_add_u32_e32 v1, v1, v14
	s_nop 1
	v_mov_b32_dpp v14, v1 row_bcast:31 row_mask:0xf bank_mask:0xf
	v_cndmask_b32_e64 v14, 0, v14, s[2:3]
	v_add_u32_e32 v1, v1, v14
	s_and_saveexec_b64 s[14:15], s[0:1]
; %bb.19:
	v_mov_b32_e32 v14, 0
	ds_write_b32 v14, v1
; %bb.20:
	s_or_b64 exec, exec, s[14:15]
	ds_bpermute_b32 v1, v9, v1
	s_waitcnt lgkmcnt(0)
	; wave barrier
	s_movk_i32 s14, 0xff
	v_cndmask_b32_e64 v1, v1, 0, s[16:17]
	v_add_u32_e32 v5, v1, v5
	v_add_u32_e32 v6, v5, v6
	;; [unrolled: 1-line block ×3, first 2 shown]
	ds_write2_b32 v2, v1, v5 offset0:1 offset1:2
	ds_write2_b32 v2, v6, v0 offset0:3 offset1:4
	s_waitcnt lgkmcnt(0)
	; wave barrier
	ds_read_b32 v0, v12 offset:4
	v_lshlrev_b32_e32 v1, 2, v13
	s_waitcnt lgkmcnt(0)
	; wave barrier
	v_lshl_add_u32 v0, v0, 2, v1
	ds_write_b32 v0, v7
	s_waitcnt lgkmcnt(0)
	; wave barrier
	ds_read_b32 v7, v11
	v_mov_b32_e32 v0, 0
	s_waitcnt lgkmcnt(0)
	; wave barrier
	ds_write2_b32 v2, v0, v0 offset0:1 offset1:2
	ds_write2_b32 v2, v0, v0 offset0:3 offset1:4
	v_and_b32_sdwa v1, v7, s14 dst_sel:DWORD dst_unused:UNUSED_PAD src0_sel:WORD_1 src1_sel:DWORD
	v_lshl_add_u32 v12, v1, 2, v10
	v_mov_b32_e32 v1, 1
	v_and_b32_sdwa v1, v7, v1 dst_sel:DWORD dst_unused:UNUSED_PAD src0_sel:WORD_1 src1_sel:DWORD
	v_add_co_u32_e32 v5, vcc, -1, v1
	v_addc_co_u32_e64 v6, s[14:15], 0, -1, vcc
	v_cmp_ne_u32_e32 vcc, 0, v1
	v_xor_b32_e32 v1, vcc_hi, v6
	v_and_b32_e32 v6, exec_hi, v1
	v_mov_b32_e32 v1, 30
	v_lshlrev_b32_sdwa v1, v1, v7 dst_sel:DWORD dst_unused:UNUSED_PAD src0_sel:DWORD src1_sel:WORD_1
	v_xor_b32_e32 v5, vcc_lo, v5
	v_cmp_gt_i64_e32 vcc, 0, v[0:1]
	v_not_b32_e32 v1, v1
	v_ashrrev_i32_e32 v1, 31, v1
	v_and_b32_e32 v5, exec_lo, v5
	v_xor_b32_e32 v13, vcc_hi, v1
	v_xor_b32_e32 v1, vcc_lo, v1
	v_and_b32_e32 v5, v5, v1
	v_mov_b32_e32 v1, 29
	v_lshlrev_b32_sdwa v1, v1, v7 dst_sel:DWORD dst_unused:UNUSED_PAD src0_sel:DWORD src1_sel:WORD_1
	v_cmp_gt_i64_e32 vcc, 0, v[0:1]
	v_not_b32_e32 v1, v1
	v_ashrrev_i32_e32 v1, 31, v1
	v_and_b32_e32 v6, v6, v13
	v_xor_b32_e32 v13, vcc_hi, v1
	v_xor_b32_e32 v1, vcc_lo, v1
	v_and_b32_e32 v5, v5, v1
	v_mov_b32_e32 v1, 28
	v_lshlrev_b32_sdwa v1, v1, v7 dst_sel:DWORD dst_unused:UNUSED_PAD src0_sel:DWORD src1_sel:WORD_1
	v_cmp_gt_i64_e32 vcc, 0, v[0:1]
	v_not_b32_e32 v1, v1
	v_ashrrev_i32_e32 v1, 31, v1
	v_and_b32_e32 v6, v6, v13
	;; [unrolled: 9-line block ×5, first 2 shown]
	v_xor_b32_e32 v13, vcc_hi, v1
	v_xor_b32_e32 v1, vcc_lo, v1
	v_and_b32_e32 v5, v5, v1
	v_mov_b32_e32 v1, 24
	v_lshlrev_b32_sdwa v1, v1, v7 dst_sel:DWORD dst_unused:UNUSED_PAD src0_sel:DWORD src1_sel:WORD_1
	v_cmp_gt_i64_e32 vcc, 0, v[0:1]
	v_not_b32_e32 v0, v1
	v_ashrrev_i32_e32 v0, 31, v0
	v_xor_b32_e32 v1, vcc_hi, v0
	v_xor_b32_e32 v0, vcc_lo, v0
	v_and_b32_e32 v6, v6, v13
	v_and_b32_e32 v0, v5, v0
	;; [unrolled: 1-line block ×3, first 2 shown]
	v_mbcnt_lo_u32_b32 v5, v0, 0
	v_mbcnt_hi_u32_b32 v13, v1, v5
	v_cmp_ne_u64_e32 vcc, 0, v[0:1]
	v_cmp_eq_u32_e64 s[14:15], 0, v13
	s_and_b64 s[18:19], vcc, s[14:15]
	s_waitcnt lgkmcnt(0)
	; wave barrier
	; wave barrier
	s_and_saveexec_b64 s[14:15], s[18:19]
; %bb.21:
	v_bcnt_u32_b32 v0, v0, 0
	v_bcnt_u32_b32 v0, v1, v0
	ds_write_b32 v12, v0 offset:4
; %bb.22:
	s_or_b64 exec, exec, s[14:15]
	; wave barrier
	s_waitcnt lgkmcnt(0)
	; wave barrier
	ds_read2_b32 v[5:6], v2 offset0:1 offset1:2
	ds_read2_b32 v[0:1], v2 offset0:3 offset1:4
	s_waitcnt lgkmcnt(1)
	v_add_u32_e32 v14, v6, v5
	s_waitcnt lgkmcnt(0)
	v_add3_u32 v1, v14, v0, v1
	s_nop 1
	v_mov_b32_dpp v14, v1 row_shr:1 row_mask:0xf bank_mask:0xf
	v_cndmask_b32_e64 v14, v14, 0, s[12:13]
	v_add_u32_e32 v1, v14, v1
	s_nop 1
	v_mov_b32_dpp v14, v1 row_shr:2 row_mask:0xf bank_mask:0xf
	v_cndmask_b32_e64 v14, 0, v14, s[10:11]
	v_add_u32_e32 v1, v1, v14
	;; [unrolled: 4-line block ×4, first 2 shown]
	s_nop 1
	v_mov_b32_dpp v14, v1 row_bcast:15 row_mask:0xf bank_mask:0xf
	v_cndmask_b32_e64 v14, v14, 0, s[4:5]
	v_add_u32_e32 v1, v1, v14
	s_nop 1
	v_mov_b32_dpp v14, v1 row_bcast:31 row_mask:0xf bank_mask:0xf
	v_cndmask_b32_e64 v14, 0, v14, s[2:3]
	v_add_u32_e32 v1, v1, v14
	s_and_saveexec_b64 s[14:15], s[0:1]
; %bb.23:
	v_mov_b32_e32 v14, 0
	ds_write_b32 v14, v1
; %bb.24:
	s_or_b64 exec, exec, s[14:15]
	ds_bpermute_b32 v1, v9, v1
	s_waitcnt lgkmcnt(0)
	; wave barrier
	v_cndmask_b32_e64 v1, v1, 0, s[16:17]
	v_add_u32_e32 v5, v1, v5
	v_add_u32_e32 v6, v5, v6
	;; [unrolled: 1-line block ×3, first 2 shown]
	ds_write2_b32 v2, v1, v5 offset0:1 offset1:2
	ds_write2_b32 v2, v6, v0 offset0:3 offset1:4
	s_waitcnt lgkmcnt(0)
	; wave barrier
	ds_read_b32 v0, v12 offset:4
	v_lshlrev_b32_e32 v1, 2, v13
	s_waitcnt lgkmcnt(0)
	; wave barrier
	v_lshl_add_u32 v0, v0, 2, v1
	ds_write_b32 v0, v7
	s_waitcnt lgkmcnt(0)
	; wave barrier
	ds_read_b32 v7, v11
	v_mov_b32_e32 v0, 0
	s_waitcnt lgkmcnt(0)
	; wave barrier
	ds_write2_b32 v2, v0, v0 offset0:1 offset1:2
	ds_write2_b32 v2, v0, v0 offset0:3 offset1:4
	v_lshrrev_b32_e32 v5, 24, v7
	v_and_b32_e32 v1, 1, v5
	v_add_co_u32_e32 v6, vcc, -1, v1
	v_addc_co_u32_e64 v11, s[14:15], 0, -1, vcc
	v_cmp_ne_u32_e32 vcc, 0, v1
	v_xor_b32_e32 v1, vcc_hi, v11
	v_and_b32_e32 v11, exec_hi, v1
	v_lshlrev_b32_e32 v1, 30, v5
	v_xor_b32_e32 v6, vcc_lo, v6
	v_cmp_gt_i64_e32 vcc, 0, v[0:1]
	v_not_b32_e32 v1, v1
	v_ashrrev_i32_e32 v1, 31, v1
	v_and_b32_e32 v6, exec_lo, v6
	v_xor_b32_e32 v12, vcc_hi, v1
	v_xor_b32_e32 v1, vcc_lo, v1
	v_and_b32_e32 v6, v6, v1
	v_lshlrev_b32_e32 v1, 29, v5
	v_cmp_gt_i64_e32 vcc, 0, v[0:1]
	v_not_b32_e32 v1, v1
	v_ashrrev_i32_e32 v1, 31, v1
	v_and_b32_e32 v11, v11, v12
	v_xor_b32_e32 v12, vcc_hi, v1
	v_xor_b32_e32 v1, vcc_lo, v1
	v_and_b32_e32 v6, v6, v1
	v_lshlrev_b32_e32 v1, 28, v5
	v_cmp_gt_i64_e32 vcc, 0, v[0:1]
	v_not_b32_e32 v1, v1
	v_ashrrev_i32_e32 v1, 31, v1
	v_and_b32_e32 v11, v11, v12
	;; [unrolled: 8-line block ×5, first 2 shown]
	v_xor_b32_e32 v12, vcc_hi, v1
	v_xor_b32_e32 v1, vcc_lo, v1
	v_and_b32_e32 v6, v6, v1
	v_lshlrev_b32_e32 v1, 24, v5
	v_cmp_gt_i64_e32 vcc, 0, v[0:1]
	v_not_b32_e32 v0, v1
	v_ashrrev_i32_e32 v0, 31, v0
	v_xor_b32_e32 v1, vcc_hi, v0
	v_xor_b32_e32 v0, vcc_lo, v0
	v_and_b32_e32 v11, v11, v12
	v_and_b32_e32 v0, v6, v0
	v_lshl_add_u32 v10, v5, 2, v10
	v_and_b32_e32 v1, v11, v1
	v_mbcnt_lo_u32_b32 v5, v0, 0
	v_mbcnt_hi_u32_b32 v11, v1, v5
	v_cmp_ne_u64_e32 vcc, 0, v[0:1]
	v_cmp_eq_u32_e64 s[14:15], 0, v11
	s_and_b64 s[18:19], vcc, s[14:15]
	s_waitcnt lgkmcnt(0)
	; wave barrier
	; wave barrier
	s_and_saveexec_b64 s[14:15], s[18:19]
; %bb.25:
	v_bcnt_u32_b32 v0, v0, 0
	v_bcnt_u32_b32 v0, v1, v0
	ds_write_b32 v10, v0 offset:4
; %bb.26:
	s_or_b64 exec, exec, s[14:15]
	; wave barrier
	s_waitcnt lgkmcnt(0)
	; wave barrier
	ds_read2_b32 v[5:6], v2 offset0:1 offset1:2
	ds_read2_b32 v[0:1], v2 offset0:3 offset1:4
	s_waitcnt lgkmcnt(1)
	v_add_u32_e32 v12, v6, v5
	s_waitcnt lgkmcnt(0)
	v_add3_u32 v1, v12, v0, v1
	s_nop 1
	v_mov_b32_dpp v12, v1 row_shr:1 row_mask:0xf bank_mask:0xf
	v_cndmask_b32_e64 v12, v12, 0, s[12:13]
	v_add_u32_e32 v1, v12, v1
	s_nop 1
	v_mov_b32_dpp v12, v1 row_shr:2 row_mask:0xf bank_mask:0xf
	v_cndmask_b32_e64 v12, 0, v12, s[10:11]
	v_add_u32_e32 v1, v1, v12
	;; [unrolled: 4-line block ×4, first 2 shown]
	s_nop 1
	v_mov_b32_dpp v12, v1 row_bcast:15 row_mask:0xf bank_mask:0xf
	v_cndmask_b32_e64 v12, v12, 0, s[4:5]
	v_add_u32_e32 v1, v1, v12
	s_nop 1
	v_mov_b32_dpp v12, v1 row_bcast:31 row_mask:0xf bank_mask:0xf
	v_cndmask_b32_e64 v12, 0, v12, s[2:3]
	v_add_u32_e32 v1, v1, v12
	s_and_saveexec_b64 s[2:3], s[0:1]
; %bb.27:
	v_mov_b32_e32 v12, 0
	ds_write_b32 v12, v1
; %bb.28:
	s_or_b64 exec, exec, s[2:3]
	ds_bpermute_b32 v1, v9, v1
	s_waitcnt lgkmcnt(0)
	; wave barrier
	v_cndmask_b32_e64 v1, v1, 0, s[16:17]
	v_add_u32_e32 v5, v1, v5
	v_add_u32_e32 v6, v5, v6
	;; [unrolled: 1-line block ×3, first 2 shown]
	ds_write2_b32 v2, v1, v5 offset0:1 offset1:2
	ds_write2_b32 v2, v6, v0 offset0:3 offset1:4
	s_waitcnt lgkmcnt(0)
	; wave barrier
	ds_read_b32 v0, v10 offset:4
	v_lshlrev_b32_e32 v1, 2, v11
	s_waitcnt lgkmcnt(0)
	; wave barrier
	v_lshl_add_u32 v0, v0, 2, v1
	ds_write_b32 v0, v7
	s_waitcnt lgkmcnt(0)
	; wave barrier
	ds_read_b32 v0, v8
	s_waitcnt lgkmcnt(0)
	global_store_dword v[3:4], v0, off
	s_endpgm
	.section	.rodata,"a",@progbits
	.p2align	6, 0x0
	.amdhsa_kernel _Z15sort_key_kernelILj64ELj1ELb0ELb0EjEvPT3_jj
		.amdhsa_group_segment_fixed_size 1040
		.amdhsa_private_segment_fixed_size 0
		.amdhsa_kernarg_size 272
		.amdhsa_user_sgpr_count 6
		.amdhsa_user_sgpr_private_segment_buffer 1
		.amdhsa_user_sgpr_dispatch_ptr 0
		.amdhsa_user_sgpr_queue_ptr 0
		.amdhsa_user_sgpr_kernarg_segment_ptr 1
		.amdhsa_user_sgpr_dispatch_id 0
		.amdhsa_user_sgpr_flat_scratch_init 0
		.amdhsa_user_sgpr_private_segment_size 0
		.amdhsa_uses_dynamic_stack 0
		.amdhsa_system_sgpr_private_segment_wavefront_offset 0
		.amdhsa_system_sgpr_workgroup_id_x 1
		.amdhsa_system_sgpr_workgroup_id_y 0
		.amdhsa_system_sgpr_workgroup_id_z 0
		.amdhsa_system_sgpr_workgroup_info 0
		.amdhsa_system_vgpr_workitem_id 2
		.amdhsa_next_free_vgpr 18
		.amdhsa_next_free_sgpr 22
		.amdhsa_reserve_vcc 1
		.amdhsa_reserve_flat_scratch 0
		.amdhsa_float_round_mode_32 0
		.amdhsa_float_round_mode_16_64 0
		.amdhsa_float_denorm_mode_32 3
		.amdhsa_float_denorm_mode_16_64 3
		.amdhsa_dx10_clamp 1
		.amdhsa_ieee_mode 1
		.amdhsa_fp16_overflow 0
		.amdhsa_exception_fp_ieee_invalid_op 0
		.amdhsa_exception_fp_denorm_src 0
		.amdhsa_exception_fp_ieee_div_zero 0
		.amdhsa_exception_fp_ieee_overflow 0
		.amdhsa_exception_fp_ieee_underflow 0
		.amdhsa_exception_fp_ieee_inexact 0
		.amdhsa_exception_int_div_zero 0
	.end_amdhsa_kernel
	.section	.text._Z15sort_key_kernelILj64ELj1ELb0ELb0EjEvPT3_jj,"axG",@progbits,_Z15sort_key_kernelILj64ELj1ELb0ELb0EjEvPT3_jj,comdat
.Lfunc_end25:
	.size	_Z15sort_key_kernelILj64ELj1ELb0ELb0EjEvPT3_jj, .Lfunc_end25-_Z15sort_key_kernelILj64ELj1ELb0ELb0EjEvPT3_jj
                                        ; -- End function
	.set _Z15sort_key_kernelILj64ELj1ELb0ELb0EjEvPT3_jj.num_vgpr, 18
	.set _Z15sort_key_kernelILj64ELj1ELb0ELb0EjEvPT3_jj.num_agpr, 0
	.set _Z15sort_key_kernelILj64ELj1ELb0ELb0EjEvPT3_jj.numbered_sgpr, 22
	.set _Z15sort_key_kernelILj64ELj1ELb0ELb0EjEvPT3_jj.num_named_barrier, 0
	.set _Z15sort_key_kernelILj64ELj1ELb0ELb0EjEvPT3_jj.private_seg_size, 0
	.set _Z15sort_key_kernelILj64ELj1ELb0ELb0EjEvPT3_jj.uses_vcc, 1
	.set _Z15sort_key_kernelILj64ELj1ELb0ELb0EjEvPT3_jj.uses_flat_scratch, 0
	.set _Z15sort_key_kernelILj64ELj1ELb0ELb0EjEvPT3_jj.has_dyn_sized_stack, 0
	.set _Z15sort_key_kernelILj64ELj1ELb0ELb0EjEvPT3_jj.has_recursion, 0
	.set _Z15sort_key_kernelILj64ELj1ELb0ELb0EjEvPT3_jj.has_indirect_call, 0
	.section	.AMDGPU.csdata,"",@progbits
; Kernel info:
; codeLenInByte = 3796
; TotalNumSgprs: 26
; NumVgprs: 18
; ScratchSize: 0
; MemoryBound: 0
; FloatMode: 240
; IeeeMode: 1
; LDSByteSize: 1040 bytes/workgroup (compile time only)
; SGPRBlocks: 3
; VGPRBlocks: 4
; NumSGPRsForWavesPerEU: 26
; NumVGPRsForWavesPerEU: 18
; Occupancy: 10
; WaveLimiterHint : 0
; COMPUTE_PGM_RSRC2:SCRATCH_EN: 0
; COMPUTE_PGM_RSRC2:USER_SGPR: 6
; COMPUTE_PGM_RSRC2:TRAP_HANDLER: 0
; COMPUTE_PGM_RSRC2:TGID_X_EN: 1
; COMPUTE_PGM_RSRC2:TGID_Y_EN: 0
; COMPUTE_PGM_RSRC2:TGID_Z_EN: 0
; COMPUTE_PGM_RSRC2:TIDIG_COMP_CNT: 2
	.section	.text._Z15sort_key_kernelILj64ELj1ELb0ELb0EoEvPT3_jj,"axG",@progbits,_Z15sort_key_kernelILj64ELj1ELb0ELb0EoEvPT3_jj,comdat
	.protected	_Z15sort_key_kernelILj64ELj1ELb0ELb0EoEvPT3_jj ; -- Begin function _Z15sort_key_kernelILj64ELj1ELb0ELb0EoEvPT3_jj
	.globl	_Z15sort_key_kernelILj64ELj1ELb0ELb0EoEvPT3_jj
	.p2align	8
	.type	_Z15sort_key_kernelILj64ELj1ELb0ELb0EoEvPT3_jj,@function
_Z15sort_key_kernelILj64ELj1ELb0ELb0EoEvPT3_jj: ; @_Z15sort_key_kernelILj64ELj1ELb0ELb0EoEvPT3_jj
; %bb.0:
	s_load_dwordx4 s[16:19], s[4:5], 0x0
	s_load_dword s7, s[4:5], 0x1c
	s_lshl_b32 s0, s6, 6
	s_mov_b32 s1, 0
	s_lshl_b64 s[0:1], s[0:1], 4
	s_waitcnt lgkmcnt(0)
	s_add_u32 s0, s16, s0
	s_addc_u32 s1, s17, s1
	v_lshlrev_b32_e32 v19, 4, v0
	global_load_dwordx4 v[3:6], v19, s[0:1]
	s_cmp_eq_u32 s18, 0
	v_mov_b32_e32 v7, s1
	v_add_co_u32_e32 v15, vcc, s0, v19
	s_cselect_b64 s[0:1], -1, 0
	s_cmpk_eq_i32 s19, 0x80
	s_cselect_b64 s[2:3], -1, 0
	s_and_b64 s[20:21], s[0:1], s[2:3]
	s_lshr_b32 s0, s7, 16
	v_mad_u32_u24 v1, v2, s0, v1
	v_mbcnt_lo_u32_b32 v2, -1, 0
	v_mbcnt_hi_u32_b32 v2, -1, v2
	v_addc_co_u32_e32 v16, vcc, 0, v7, vcc
	s_and_b32 s1, s7, 0xffff
	v_and_b32_e32 v7, 15, v2
	v_mad_u32_u24 v1, v1, s1, v0
	v_cmp_eq_u32_e64 s[0:1], 0, v7
	v_cmp_lt_u32_e64 s[2:3], 1, v7
	v_cmp_lt_u32_e64 s[4:5], 3, v7
	;; [unrolled: 1-line block ×3, first 2 shown]
	v_and_b32_e32 v7, 16, v2
	v_cmp_eq_u32_e64 s[8:9], 0, v7
	v_subrev_co_u32_e32 v7, vcc, 1, v2
	v_and_b32_e32 v8, 64, v2
	v_cmp_lt_i32_e64 s[14:15], v7, v8
	v_cmp_eq_u32_e64 s[12:13], 63, v0
	v_cndmask_b32_e64 v7, v7, v2, s[14:15]
	v_cmp_eq_u32_e64 s[14:15], 0, v0
	v_lshrrev_b32_e32 v0, 4, v1
	v_mov_b32_e32 v17, 0
	v_cmp_lt_u32_e64 s[10:11], 31, v2
	v_lshlrev_b32_e32 v20, 2, v7
	s_or_b64 s[16:17], s[14:15], vcc
	v_lshlrev_b32_e32 v21, 4, v2
	v_and_b32_e32 v22, 0xffffffc, v0
	s_mov_b64 s[14:15], -1
	s_and_b64 vcc, exec, s[20:21]
	s_cbranch_vccz .LBB26_3
; %bb.1:
	s_and_b64 vcc, exec, s[14:15]
	s_cbranch_vccnz .LBB26_12
.LBB26_2:
	s_waitcnt vmcnt(0)
	ds_read_b128 v[0:3], v19
	s_waitcnt lgkmcnt(0)
	global_store_dwordx4 v[15:16], v[0:3], off
	s_endpgm
.LBB26_3:
	s_waitcnt vmcnt(0)
	v_mov_b32_e32 v12, v4
	v_mov_b32_e32 v14, v6
	s_sub_i32 s20, s19, s18
	v_mov_b32_e32 v11, v3
	v_mov_b32_e32 v13, v5
	s_branch .LBB26_5
.LBB26_4:                               ;   in Loop: Header=BB26_5 Depth=1
	s_andn2_b64 vcc, exec, s[14:15]
	s_cbranch_vccz .LBB26_11
.LBB26_5:                               ; =>This Inner Loop Header: Depth=1
	v_mov_b32_e32 v7, v11
	v_mov_b32_e32 v9, v13
	;; [unrolled: 1-line block ×4, first 2 shown]
	v_lshrrev_b64 v[0:1], s18, v[7:8]
	s_sub_i32 s15, 64, s18
	v_lshlrev_b64 v[1:2], s15, v[9:10]
	s_min_u32 s14, s20, 8
	s_sub_i32 s15, s18, 64
	v_or_b32_e32 v2, v0, v1
	v_lshrrev_b64 v[0:1], s15, v[9:10]
	s_cmp_lt_u32 s18, 64
	s_cselect_b64 vcc, -1, 0
	s_cmp_eq_u32 s18, 0
	v_cndmask_b32_e32 v0, v0, v2, vcc
	s_cselect_b64 vcc, -1, 0
	v_cndmask_b32_e32 v0, v0, v7, vcc
	v_bfe_u32 v0, v0, 0, s14
	v_and_b32_e32 v1, 1, v0
	v_add_co_u32_e32 v11, vcc, -1, v1
	v_addc_co_u32_e64 v12, s[14:15], 0, -1, vcc
	v_cmp_ne_u32_e32 vcc, 0, v1
	v_lshlrev_b32_e32 v18, 30, v0
	v_xor_b32_e32 v1, vcc_hi, v12
	v_xor_b32_e32 v11, vcc_lo, v11
	v_cmp_gt_i64_e32 vcc, 0, v[17:18]
	v_not_b32_e32 v12, v18
	v_ashrrev_i32_e32 v12, 31, v12
	v_and_b32_e32 v11, exec_lo, v11
	v_xor_b32_e32 v13, vcc_hi, v12
	v_xor_b32_e32 v12, vcc_lo, v12
	v_lshlrev_b32_e32 v18, 29, v0
	v_and_b32_e32 v11, v11, v12
	v_cmp_gt_i64_e32 vcc, 0, v[17:18]
	v_not_b32_e32 v12, v18
	v_and_b32_e32 v1, exec_hi, v1
	v_ashrrev_i32_e32 v12, 31, v12
	v_and_b32_e32 v1, v1, v13
	v_xor_b32_e32 v13, vcc_hi, v12
	v_xor_b32_e32 v12, vcc_lo, v12
	v_lshlrev_b32_e32 v18, 28, v0
	v_and_b32_e32 v11, v11, v12
	v_cmp_gt_i64_e32 vcc, 0, v[17:18]
	v_not_b32_e32 v12, v18
	v_ashrrev_i32_e32 v12, 31, v12
	v_and_b32_e32 v1, v1, v13
	v_xor_b32_e32 v13, vcc_hi, v12
	v_xor_b32_e32 v12, vcc_lo, v12
	v_lshlrev_b32_e32 v18, 27, v0
	v_and_b32_e32 v11, v11, v12
	v_cmp_gt_i64_e32 vcc, 0, v[17:18]
	v_not_b32_e32 v12, v18
	;; [unrolled: 8-line block ×4, first 2 shown]
	v_ashrrev_i32_e32 v12, 31, v12
	v_lshlrev_b32_e32 v18, 24, v0
	v_lshl_add_u32 v2, v0, 2, v22
	v_and_b32_e32 v1, v1, v13
	v_xor_b32_e32 v13, vcc_hi, v12
	v_xor_b32_e32 v12, vcc_lo, v12
	v_cmp_gt_i64_e32 vcc, 0, v[17:18]
	v_not_b32_e32 v0, v18
	v_ashrrev_i32_e32 v0, 31, v0
	v_and_b32_e32 v11, v11, v12
	v_xor_b32_e32 v12, vcc_hi, v0
	v_xor_b32_e32 v0, vcc_lo, v0
	v_and_b32_e32 v1, v1, v13
	v_and_b32_e32 v0, v11, v0
	;; [unrolled: 1-line block ×3, first 2 shown]
	v_mbcnt_lo_u32_b32 v11, v0, 0
	v_mbcnt_hi_u32_b32 v13, v1, v11
	v_cmp_ne_u64_e32 vcc, 0, v[0:1]
	v_cmp_eq_u32_e64 s[14:15], 0, v13
	s_and_b64 s[22:23], vcc, s[14:15]
	ds_write2_b32 v19, v17, v17 offset0:1 offset1:2
	ds_write2_b32 v19, v17, v17 offset0:3 offset1:4
	s_waitcnt lgkmcnt(0)
	; wave barrier
	; wave barrier
	s_and_saveexec_b64 s[14:15], s[22:23]
; %bb.6:                                ;   in Loop: Header=BB26_5 Depth=1
	v_bcnt_u32_b32 v0, v0, 0
	v_bcnt_u32_b32 v0, v1, v0
	ds_write_b32 v2, v0 offset:4
; %bb.7:                                ;   in Loop: Header=BB26_5 Depth=1
	s_or_b64 exec, exec, s[14:15]
	; wave barrier
	s_waitcnt lgkmcnt(0)
	; wave barrier
	ds_read2_b32 v[11:12], v19 offset0:1 offset1:2
	ds_read2_b32 v[0:1], v19 offset0:3 offset1:4
	s_waitcnt lgkmcnt(1)
	v_add_u32_e32 v14, v12, v11
	s_waitcnt lgkmcnt(0)
	v_add3_u32 v1, v14, v0, v1
	s_nop 1
	v_mov_b32_dpp v14, v1 row_shr:1 row_mask:0xf bank_mask:0xf
	v_cndmask_b32_e64 v14, v14, 0, s[0:1]
	v_add_u32_e32 v1, v14, v1
	s_nop 1
	v_mov_b32_dpp v14, v1 row_shr:2 row_mask:0xf bank_mask:0xf
	v_cndmask_b32_e64 v14, 0, v14, s[2:3]
	v_add_u32_e32 v1, v1, v14
	;; [unrolled: 4-line block ×4, first 2 shown]
	s_nop 1
	v_mov_b32_dpp v14, v1 row_bcast:15 row_mask:0xf bank_mask:0xf
	v_cndmask_b32_e64 v14, v14, 0, s[8:9]
	v_add_u32_e32 v1, v1, v14
	s_nop 1
	v_mov_b32_dpp v14, v1 row_bcast:31 row_mask:0xf bank_mask:0xf
	v_cndmask_b32_e64 v14, 0, v14, s[10:11]
	v_add_u32_e32 v1, v1, v14
	s_and_saveexec_b64 s[14:15], s[12:13]
; %bb.8:                                ;   in Loop: Header=BB26_5 Depth=1
	ds_write_b32 v17, v1
; %bb.9:                                ;   in Loop: Header=BB26_5 Depth=1
	s_or_b64 exec, exec, s[14:15]
	ds_bpermute_b32 v1, v20, v1
	s_waitcnt lgkmcnt(0)
	; wave barrier
	s_add_i32 s18, s18, 8
	s_cmp_ge_u32 s18, s19
	v_cndmask_b32_e64 v1, v1, 0, s[16:17]
	v_add_u32_e32 v11, v1, v11
	v_add_u32_e32 v12, v11, v12
	;; [unrolled: 1-line block ×3, first 2 shown]
	ds_write2_b32 v19, v1, v11 offset0:1 offset1:2
	ds_write2_b32 v19, v12, v0 offset0:3 offset1:4
	s_waitcnt lgkmcnt(0)
	; wave barrier
	ds_read_b32 v0, v2 offset:4
	v_lshlrev_b32_e32 v1, 4, v13
	s_mov_b64 s[14:15], -1
	s_waitcnt lgkmcnt(0)
                                        ; implicit-def: $vgpr11_vgpr12
	v_lshl_add_u32 v0, v0, 4, v1
	s_cbranch_scc1 .LBB26_4
; %bb.10:                               ;   in Loop: Header=BB26_5 Depth=1
	; wave barrier
	ds_write_b128 v0, v[7:10]
	s_waitcnt lgkmcnt(0)
	; wave barrier
	ds_read_b128 v[11:14], v21
	s_add_i32 s20, s20, -8
	s_mov_b64 s[14:15], 0
	s_waitcnt lgkmcnt(0)
	; wave barrier
	s_branch .LBB26_4
.LBB26_11:
	; wave barrier
	ds_write_b128 v0, v[7:10]
	s_waitcnt lgkmcnt(0)
	; wave barrier
	s_branch .LBB26_2
.LBB26_12:
	s_mov_b32 s18, 0
	v_mov_b32_e32 v0, 0
	s_branch .LBB26_14
.LBB26_13:                              ;   in Loop: Header=BB26_14 Depth=1
	s_andn2_b64 vcc, exec, s[14:15]
	s_cbranch_vccz .LBB26_20
.LBB26_14:                              ; =>This Inner Loop Header: Depth=1
	s_waitcnt vmcnt(0)
	v_mov_b32_e32 v8, v4
	v_mov_b32_e32 v10, v6
	;; [unrolled: 1-line block ×4, first 2 shown]
	v_lshrrev_b64 v[1:2], s18, v[7:8]
	s_sub_i32 s14, 64, s18
	v_lshlrev_b64 v[2:3], s14, v[9:10]
	s_sub_i32 s14, s18, 64
	v_or_b32_e32 v3, v1, v2
	v_lshrrev_b64 v[1:2], s14, v[9:10]
	s_cmp_lt_u32 s18, 64
	s_cselect_b64 vcc, -1, 0
	s_cmp_eq_u32 s18, 0
	v_cndmask_b32_e32 v1, v1, v3, vcc
	s_cselect_b64 vcc, -1, 0
	v_cndmask_b32_e32 v2, v1, v7, vcc
	v_and_b32_e32 v1, 0xff, v2
	v_lshl_add_u32 v5, v1, 2, v22
	v_and_b32_e32 v1, 1, v2
	v_add_co_u32_e32 v3, vcc, -1, v1
	v_addc_co_u32_e64 v4, s[14:15], 0, -1, vcc
	v_cmp_ne_u32_e32 vcc, 0, v1
	v_xor_b32_e32 v1, vcc_hi, v4
	v_and_b32_e32 v4, exec_hi, v1
	v_lshlrev_b32_e32 v1, 30, v2
	v_xor_b32_e32 v3, vcc_lo, v3
	v_cmp_gt_i64_e32 vcc, 0, v[0:1]
	v_not_b32_e32 v1, v1
	v_ashrrev_i32_e32 v1, 31, v1
	v_and_b32_e32 v3, exec_lo, v3
	v_xor_b32_e32 v6, vcc_hi, v1
	v_xor_b32_e32 v1, vcc_lo, v1
	v_and_b32_e32 v3, v3, v1
	v_lshlrev_b32_e32 v1, 29, v2
	v_cmp_gt_i64_e32 vcc, 0, v[0:1]
	v_not_b32_e32 v1, v1
	v_ashrrev_i32_e32 v1, 31, v1
	v_and_b32_e32 v4, v4, v6
	v_xor_b32_e32 v6, vcc_hi, v1
	v_xor_b32_e32 v1, vcc_lo, v1
	v_and_b32_e32 v3, v3, v1
	v_lshlrev_b32_e32 v1, 28, v2
	v_cmp_gt_i64_e32 vcc, 0, v[0:1]
	v_not_b32_e32 v1, v1
	v_ashrrev_i32_e32 v1, 31, v1
	v_and_b32_e32 v4, v4, v6
	;; [unrolled: 8-line block ×5, first 2 shown]
	v_xor_b32_e32 v6, vcc_hi, v1
	v_xor_b32_e32 v1, vcc_lo, v1
	v_and_b32_e32 v3, v3, v1
	v_lshlrev_b32_e32 v1, 24, v2
	v_cmp_gt_i64_e32 vcc, 0, v[0:1]
	v_not_b32_e32 v1, v1
	v_ashrrev_i32_e32 v1, 31, v1
	v_xor_b32_e32 v2, vcc_hi, v1
	v_xor_b32_e32 v1, vcc_lo, v1
	v_and_b32_e32 v4, v4, v6
	v_and_b32_e32 v1, v3, v1
	;; [unrolled: 1-line block ×3, first 2 shown]
	v_mbcnt_lo_u32_b32 v3, v1, 0
	v_mbcnt_hi_u32_b32 v6, v2, v3
	v_cmp_ne_u64_e32 vcc, 0, v[1:2]
	v_cmp_eq_u32_e64 s[14:15], 0, v6
	s_and_b64 s[20:21], vcc, s[14:15]
	ds_write2_b32 v19, v0, v0 offset0:1 offset1:2
	ds_write2_b32 v19, v0, v0 offset0:3 offset1:4
	s_waitcnt lgkmcnt(0)
	; wave barrier
	; wave barrier
	s_and_saveexec_b64 s[14:15], s[20:21]
; %bb.15:                               ;   in Loop: Header=BB26_14 Depth=1
	v_bcnt_u32_b32 v1, v1, 0
	v_bcnt_u32_b32 v1, v2, v1
	ds_write_b32 v5, v1 offset:4
; %bb.16:                               ;   in Loop: Header=BB26_14 Depth=1
	s_or_b64 exec, exec, s[14:15]
	; wave barrier
	s_waitcnt lgkmcnt(0)
	; wave barrier
	ds_read2_b32 v[3:4], v19 offset0:1 offset1:2
	ds_read2_b32 v[1:2], v19 offset0:3 offset1:4
	s_waitcnt lgkmcnt(1)
	v_add_u32_e32 v11, v4, v3
	s_waitcnt lgkmcnt(0)
	v_add3_u32 v2, v11, v1, v2
	s_nop 1
	v_mov_b32_dpp v11, v2 row_shr:1 row_mask:0xf bank_mask:0xf
	v_cndmask_b32_e64 v11, v11, 0, s[0:1]
	v_add_u32_e32 v2, v11, v2
	s_nop 1
	v_mov_b32_dpp v11, v2 row_shr:2 row_mask:0xf bank_mask:0xf
	v_cndmask_b32_e64 v11, 0, v11, s[2:3]
	v_add_u32_e32 v2, v2, v11
	;; [unrolled: 4-line block ×4, first 2 shown]
	s_nop 1
	v_mov_b32_dpp v11, v2 row_bcast:15 row_mask:0xf bank_mask:0xf
	v_cndmask_b32_e64 v11, v11, 0, s[8:9]
	v_add_u32_e32 v2, v2, v11
	s_nop 1
	v_mov_b32_dpp v11, v2 row_bcast:31 row_mask:0xf bank_mask:0xf
	v_cndmask_b32_e64 v11, 0, v11, s[10:11]
	v_add_u32_e32 v2, v2, v11
	s_and_saveexec_b64 s[14:15], s[12:13]
; %bb.17:                               ;   in Loop: Header=BB26_14 Depth=1
	ds_write_b32 v0, v2
; %bb.18:                               ;   in Loop: Header=BB26_14 Depth=1
	s_or_b64 exec, exec, s[14:15]
	ds_bpermute_b32 v2, v20, v2
	s_waitcnt lgkmcnt(0)
	; wave barrier
	s_cmpk_gt_u32 s18, 0x77
	s_mov_b64 s[14:15], -1
	v_cndmask_b32_e64 v2, v2, 0, s[16:17]
	v_add_u32_e32 v3, v2, v3
	v_add_u32_e32 v4, v3, v4
	;; [unrolled: 1-line block ×3, first 2 shown]
	ds_write2_b32 v19, v2, v3 offset0:1 offset1:2
	ds_write2_b32 v19, v4, v1 offset0:3 offset1:4
	s_waitcnt lgkmcnt(0)
	; wave barrier
	ds_read_b32 v1, v5 offset:4
	s_waitcnt lgkmcnt(0)
	v_add_u32_e32 v1, v1, v6
                                        ; implicit-def: $vgpr3_vgpr4
	s_cbranch_scc1 .LBB26_13
; %bb.19:                               ;   in Loop: Header=BB26_14 Depth=1
	v_lshlrev_b32_e32 v2, 4, v1
	; wave barrier
	ds_write_b128 v2, v[7:10]
	s_waitcnt lgkmcnt(0)
	; wave barrier
	ds_read_b128 v[3:6], v21
	s_add_i32 s18, s18, 8
	s_mov_b64 s[14:15], 0
	s_waitcnt lgkmcnt(0)
	; wave barrier
	s_branch .LBB26_13
.LBB26_20:
	v_lshlrev_b32_e32 v0, 4, v1
	; wave barrier
	ds_write_b128 v0, v[7:10]
	s_waitcnt lgkmcnt(0)
	; wave barrier
	ds_read_b128 v[0:3], v19
	s_waitcnt lgkmcnt(0)
	global_store_dwordx4 v[15:16], v[0:3], off
	s_endpgm
	.section	.rodata,"a",@progbits
	.p2align	6, 0x0
	.amdhsa_kernel _Z15sort_key_kernelILj64ELj1ELb0ELb0EoEvPT3_jj
		.amdhsa_group_segment_fixed_size 1040
		.amdhsa_private_segment_fixed_size 0
		.amdhsa_kernarg_size 272
		.amdhsa_user_sgpr_count 6
		.amdhsa_user_sgpr_private_segment_buffer 1
		.amdhsa_user_sgpr_dispatch_ptr 0
		.amdhsa_user_sgpr_queue_ptr 0
		.amdhsa_user_sgpr_kernarg_segment_ptr 1
		.amdhsa_user_sgpr_dispatch_id 0
		.amdhsa_user_sgpr_flat_scratch_init 0
		.amdhsa_user_sgpr_private_segment_size 0
		.amdhsa_uses_dynamic_stack 0
		.amdhsa_system_sgpr_private_segment_wavefront_offset 0
		.amdhsa_system_sgpr_workgroup_id_x 1
		.amdhsa_system_sgpr_workgroup_id_y 0
		.amdhsa_system_sgpr_workgroup_id_z 0
		.amdhsa_system_sgpr_workgroup_info 0
		.amdhsa_system_vgpr_workitem_id 2
		.amdhsa_next_free_vgpr 23
		.amdhsa_next_free_sgpr 24
		.amdhsa_reserve_vcc 1
		.amdhsa_reserve_flat_scratch 0
		.amdhsa_float_round_mode_32 0
		.amdhsa_float_round_mode_16_64 0
		.amdhsa_float_denorm_mode_32 3
		.amdhsa_float_denorm_mode_16_64 3
		.amdhsa_dx10_clamp 1
		.amdhsa_ieee_mode 1
		.amdhsa_fp16_overflow 0
		.amdhsa_exception_fp_ieee_invalid_op 0
		.amdhsa_exception_fp_denorm_src 0
		.amdhsa_exception_fp_ieee_div_zero 0
		.amdhsa_exception_fp_ieee_overflow 0
		.amdhsa_exception_fp_ieee_underflow 0
		.amdhsa_exception_fp_ieee_inexact 0
		.amdhsa_exception_int_div_zero 0
	.end_amdhsa_kernel
	.section	.text._Z15sort_key_kernelILj64ELj1ELb0ELb0EoEvPT3_jj,"axG",@progbits,_Z15sort_key_kernelILj64ELj1ELb0ELb0EoEvPT3_jj,comdat
.Lfunc_end26:
	.size	_Z15sort_key_kernelILj64ELj1ELb0ELb0EoEvPT3_jj, .Lfunc_end26-_Z15sort_key_kernelILj64ELj1ELb0ELb0EoEvPT3_jj
                                        ; -- End function
	.set _Z15sort_key_kernelILj64ELj1ELb0ELb0EoEvPT3_jj.num_vgpr, 23
	.set _Z15sort_key_kernelILj64ELj1ELb0ELb0EoEvPT3_jj.num_agpr, 0
	.set _Z15sort_key_kernelILj64ELj1ELb0ELb0EoEvPT3_jj.numbered_sgpr, 24
	.set _Z15sort_key_kernelILj64ELj1ELb0ELb0EoEvPT3_jj.num_named_barrier, 0
	.set _Z15sort_key_kernelILj64ELj1ELb0ELb0EoEvPT3_jj.private_seg_size, 0
	.set _Z15sort_key_kernelILj64ELj1ELb0ELb0EoEvPT3_jj.uses_vcc, 1
	.set _Z15sort_key_kernelILj64ELj1ELb0ELb0EoEvPT3_jj.uses_flat_scratch, 0
	.set _Z15sort_key_kernelILj64ELj1ELb0ELb0EoEvPT3_jj.has_dyn_sized_stack, 0
	.set _Z15sort_key_kernelILj64ELj1ELb0ELb0EoEvPT3_jj.has_recursion, 0
	.set _Z15sort_key_kernelILj64ELj1ELb0ELb0EoEvPT3_jj.has_indirect_call, 0
	.section	.AMDGPU.csdata,"",@progbits
; Kernel info:
; codeLenInByte = 1940
; TotalNumSgprs: 28
; NumVgprs: 23
; ScratchSize: 0
; MemoryBound: 0
; FloatMode: 240
; IeeeMode: 1
; LDSByteSize: 1040 bytes/workgroup (compile time only)
; SGPRBlocks: 3
; VGPRBlocks: 5
; NumSGPRsForWavesPerEU: 28
; NumVGPRsForWavesPerEU: 23
; Occupancy: 10
; WaveLimiterHint : 0
; COMPUTE_PGM_RSRC2:SCRATCH_EN: 0
; COMPUTE_PGM_RSRC2:USER_SGPR: 6
; COMPUTE_PGM_RSRC2:TRAP_HANDLER: 0
; COMPUTE_PGM_RSRC2:TGID_X_EN: 1
; COMPUTE_PGM_RSRC2:TGID_Y_EN: 0
; COMPUTE_PGM_RSRC2:TGID_Z_EN: 0
; COMPUTE_PGM_RSRC2:TIDIG_COMP_CNT: 2
	.section	.text._Z15sort_key_kernelILj64ELj1ELb0ELb0EnEvPT3_jj,"axG",@progbits,_Z15sort_key_kernelILj64ELj1ELb0ELb0EnEvPT3_jj,comdat
	.protected	_Z15sort_key_kernelILj64ELj1ELb0ELb0EnEvPT3_jj ; -- Begin function _Z15sort_key_kernelILj64ELj1ELb0ELb0EnEvPT3_jj
	.globl	_Z15sort_key_kernelILj64ELj1ELb0ELb0EnEvPT3_jj
	.p2align	8
	.type	_Z15sort_key_kernelILj64ELj1ELb0ELb0EnEvPT3_jj,@function
_Z15sort_key_kernelILj64ELj1ELb0ELb0EnEvPT3_jj: ; @_Z15sort_key_kernelILj64ELj1ELb0ELb0EnEvPT3_jj
; %bb.0:
	s_load_dwordx4 s[16:19], s[4:5], 0x0
	s_load_dword s26, s[4:5], 0x1c
	s_lshl_b32 s0, s6, 6
	s_mov_b32 s1, 0
	s_lshl_b64 s[0:1], s[0:1], 4
	s_waitcnt lgkmcnt(0)
	s_add_u32 s22, s16, s0
	s_addc_u32 s23, s17, s1
	v_lshlrev_b32_e32 v19, 4, v0
	global_load_dwordx4 v[3:6], v19, s[22:23]
	v_mbcnt_lo_u32_b32 v7, -1, 0
	v_mbcnt_hi_u32_b32 v7, -1, v7
	v_subrev_co_u32_e64 v10, s[14:15], 1, v7
	v_and_b32_e32 v11, 64, v7
	v_cmp_lt_i32_e64 s[16:17], v10, v11
	v_and_b32_e32 v8, 15, v7
	v_and_b32_e32 v9, 16, v7
	v_cmp_lt_u32_e64 s[2:3], 31, v7
	v_lshlrev_b32_e32 v20, 4, v7
	v_cndmask_b32_e64 v7, v10, v7, s[16:17]
	s_cmp_eq_u32 s18, 0
	v_lshlrev_b32_e32 v21, 2, v7
	v_mov_b32_e32 v7, s23
	v_add_co_u32_e64 v15, s[16:17], s22, v19
	s_cselect_b64 s[22:23], -1, 0
	s_cmpk_eq_i32 s19, 0x80
	s_cselect_b64 s[24:25], -1, 0
	s_lshr_b32 s27, s26, 16
	s_and_b32 s26, s26, 0xffff
	v_mad_u32_u24 v1, v2, s27, v1
	v_cmp_eq_u32_e64 s[0:1], 63, v0
	v_cmp_eq_u32_e32 vcc, 0, v0
	v_addc_co_u32_e64 v16, s[16:17], 0, v7, s[16:17]
	v_mad_u32_u24 v0, v1, s26, v0
	s_or_b64 s[16:17], vcc, s[14:15]
	s_and_b64 s[14:15], s[22:23], s[24:25]
	v_lshrrev_b32_e32 v0, 4, v0
	v_mov_b32_e32 v17, 0
	s_mov_b64 s[20:21], -1
	v_cmp_eq_u32_e64 s[4:5], 0, v8
	v_cmp_lt_u32_e64 s[6:7], 1, v8
	v_cmp_lt_u32_e64 s[8:9], 3, v8
	;; [unrolled: 1-line block ×3, first 2 shown]
	v_cmp_eq_u32_e64 s[12:13], 0, v9
	s_and_b64 vcc, exec, s[14:15]
	v_and_b32_e32 v22, 0xffffffc, v0
	s_waitcnt vmcnt(0)
	v_xor_b32_e32 v6, 0x80000000, v6
	s_cbranch_vccnz .LBB27_10
; %bb.1:
	v_mov_b32_e32 v12, v4
	v_mov_b32_e32 v14, v6
	s_sub_i32 s20, s19, s18
	v_mov_b32_e32 v11, v3
	v_mov_b32_e32 v13, v5
	s_branch .LBB27_3
.LBB27_2:                               ;   in Loop: Header=BB27_3 Depth=1
	s_andn2_b64 vcc, exec, s[14:15]
	s_cbranch_vccz .LBB27_9
.LBB27_3:                               ; =>This Inner Loop Header: Depth=1
	v_mov_b32_e32 v7, v11
	v_mov_b32_e32 v9, v13
	;; [unrolled: 1-line block ×4, first 2 shown]
	v_lshrrev_b64 v[0:1], s18, v[7:8]
	s_sub_i32 s15, 64, s18
	v_lshlrev_b64 v[1:2], s15, v[9:10]
	s_min_u32 s14, s20, 8
	s_sub_i32 s15, s18, 64
	v_or_b32_e32 v2, v0, v1
	v_lshrrev_b64 v[0:1], s15, v[9:10]
	s_cmp_lt_u32 s18, 64
	s_cselect_b64 vcc, -1, 0
	s_cmp_eq_u32 s18, 0
	v_cndmask_b32_e32 v0, v0, v2, vcc
	s_cselect_b64 vcc, -1, 0
	v_cndmask_b32_e32 v0, v0, v7, vcc
	v_bfe_u32 v0, v0, 0, s14
	v_and_b32_e32 v1, 1, v0
	v_add_co_u32_e32 v11, vcc, -1, v1
	v_addc_co_u32_e64 v12, s[14:15], 0, -1, vcc
	v_cmp_ne_u32_e32 vcc, 0, v1
	v_lshlrev_b32_e32 v18, 30, v0
	v_xor_b32_e32 v1, vcc_hi, v12
	v_xor_b32_e32 v11, vcc_lo, v11
	v_cmp_gt_i64_e32 vcc, 0, v[17:18]
	v_not_b32_e32 v12, v18
	v_ashrrev_i32_e32 v12, 31, v12
	v_and_b32_e32 v11, exec_lo, v11
	v_xor_b32_e32 v13, vcc_hi, v12
	v_xor_b32_e32 v12, vcc_lo, v12
	v_lshlrev_b32_e32 v18, 29, v0
	v_and_b32_e32 v11, v11, v12
	v_cmp_gt_i64_e32 vcc, 0, v[17:18]
	v_not_b32_e32 v12, v18
	v_and_b32_e32 v1, exec_hi, v1
	v_ashrrev_i32_e32 v12, 31, v12
	v_and_b32_e32 v1, v1, v13
	v_xor_b32_e32 v13, vcc_hi, v12
	v_xor_b32_e32 v12, vcc_lo, v12
	v_lshlrev_b32_e32 v18, 28, v0
	v_and_b32_e32 v11, v11, v12
	v_cmp_gt_i64_e32 vcc, 0, v[17:18]
	v_not_b32_e32 v12, v18
	v_ashrrev_i32_e32 v12, 31, v12
	v_and_b32_e32 v1, v1, v13
	v_xor_b32_e32 v13, vcc_hi, v12
	v_xor_b32_e32 v12, vcc_lo, v12
	v_lshlrev_b32_e32 v18, 27, v0
	v_and_b32_e32 v11, v11, v12
	v_cmp_gt_i64_e32 vcc, 0, v[17:18]
	v_not_b32_e32 v12, v18
	v_ashrrev_i32_e32 v12, 31, v12
	v_and_b32_e32 v1, v1, v13
	v_xor_b32_e32 v13, vcc_hi, v12
	v_xor_b32_e32 v12, vcc_lo, v12
	v_lshlrev_b32_e32 v18, 26, v0
	v_and_b32_e32 v11, v11, v12
	v_cmp_gt_i64_e32 vcc, 0, v[17:18]
	v_not_b32_e32 v12, v18
	v_ashrrev_i32_e32 v12, 31, v12
	v_and_b32_e32 v1, v1, v13
	v_xor_b32_e32 v13, vcc_hi, v12
	v_xor_b32_e32 v12, vcc_lo, v12
	v_lshlrev_b32_e32 v18, 25, v0
	v_and_b32_e32 v11, v11, v12
	v_cmp_gt_i64_e32 vcc, 0, v[17:18]
	v_not_b32_e32 v12, v18
	v_ashrrev_i32_e32 v12, 31, v12
	v_lshlrev_b32_e32 v18, 24, v0
	v_lshl_add_u32 v2, v0, 2, v22
	v_and_b32_e32 v1, v1, v13
	v_xor_b32_e32 v13, vcc_hi, v12
	v_xor_b32_e32 v12, vcc_lo, v12
	v_cmp_gt_i64_e32 vcc, 0, v[17:18]
	v_not_b32_e32 v0, v18
	v_ashrrev_i32_e32 v0, 31, v0
	v_and_b32_e32 v11, v11, v12
	v_xor_b32_e32 v12, vcc_hi, v0
	v_xor_b32_e32 v0, vcc_lo, v0
	v_and_b32_e32 v1, v1, v13
	v_and_b32_e32 v0, v11, v0
	v_and_b32_e32 v1, v1, v12
	v_mbcnt_lo_u32_b32 v11, v0, 0
	v_mbcnt_hi_u32_b32 v13, v1, v11
	v_cmp_ne_u64_e32 vcc, 0, v[0:1]
	v_cmp_eq_u32_e64 s[14:15], 0, v13
	s_and_b64 s[22:23], vcc, s[14:15]
	ds_write2_b32 v19, v17, v17 offset0:1 offset1:2
	ds_write2_b32 v19, v17, v17 offset0:3 offset1:4
	s_waitcnt lgkmcnt(0)
	; wave barrier
	; wave barrier
	s_and_saveexec_b64 s[14:15], s[22:23]
; %bb.4:                                ;   in Loop: Header=BB27_3 Depth=1
	v_bcnt_u32_b32 v0, v0, 0
	v_bcnt_u32_b32 v0, v1, v0
	ds_write_b32 v2, v0 offset:4
; %bb.5:                                ;   in Loop: Header=BB27_3 Depth=1
	s_or_b64 exec, exec, s[14:15]
	; wave barrier
	s_waitcnt lgkmcnt(0)
	; wave barrier
	ds_read2_b32 v[11:12], v19 offset0:1 offset1:2
	ds_read2_b32 v[0:1], v19 offset0:3 offset1:4
	s_waitcnt lgkmcnt(1)
	v_add_u32_e32 v14, v12, v11
	s_waitcnt lgkmcnt(0)
	v_add3_u32 v1, v14, v0, v1
	s_nop 1
	v_mov_b32_dpp v14, v1 row_shr:1 row_mask:0xf bank_mask:0xf
	v_cndmask_b32_e64 v14, v14, 0, s[4:5]
	v_add_u32_e32 v1, v14, v1
	s_nop 1
	v_mov_b32_dpp v14, v1 row_shr:2 row_mask:0xf bank_mask:0xf
	v_cndmask_b32_e64 v14, 0, v14, s[6:7]
	v_add_u32_e32 v1, v1, v14
	;; [unrolled: 4-line block ×4, first 2 shown]
	s_nop 1
	v_mov_b32_dpp v14, v1 row_bcast:15 row_mask:0xf bank_mask:0xf
	v_cndmask_b32_e64 v14, v14, 0, s[12:13]
	v_add_u32_e32 v1, v1, v14
	s_nop 1
	v_mov_b32_dpp v14, v1 row_bcast:31 row_mask:0xf bank_mask:0xf
	v_cndmask_b32_e64 v14, 0, v14, s[2:3]
	v_add_u32_e32 v1, v1, v14
	s_and_saveexec_b64 s[14:15], s[0:1]
; %bb.6:                                ;   in Loop: Header=BB27_3 Depth=1
	ds_write_b32 v17, v1
; %bb.7:                                ;   in Loop: Header=BB27_3 Depth=1
	s_or_b64 exec, exec, s[14:15]
	ds_bpermute_b32 v1, v21, v1
	s_waitcnt lgkmcnt(0)
	; wave barrier
	s_add_i32 s18, s18, 8
	s_cmp_ge_u32 s18, s19
	v_cndmask_b32_e64 v1, v1, 0, s[16:17]
	v_add_u32_e32 v11, v1, v11
	v_add_u32_e32 v12, v11, v12
	;; [unrolled: 1-line block ×3, first 2 shown]
	ds_write2_b32 v19, v1, v11 offset0:1 offset1:2
	ds_write2_b32 v19, v12, v0 offset0:3 offset1:4
	s_waitcnt lgkmcnt(0)
	; wave barrier
	ds_read_b32 v0, v2 offset:4
	v_lshlrev_b32_e32 v1, 4, v13
	s_mov_b64 s[14:15], -1
	s_waitcnt lgkmcnt(0)
                                        ; implicit-def: $vgpr11_vgpr12
	v_lshl_add_u32 v0, v0, 4, v1
	s_cbranch_scc1 .LBB27_2
; %bb.8:                                ;   in Loop: Header=BB27_3 Depth=1
	; wave barrier
	ds_write_b128 v0, v[7:10]
	s_waitcnt lgkmcnt(0)
	; wave barrier
	ds_read_b128 v[11:14], v20
	s_add_i32 s20, s20, -8
	s_mov_b64 s[14:15], 0
	s_waitcnt lgkmcnt(0)
	; wave barrier
	s_branch .LBB27_2
.LBB27_9:
	s_mov_b64 s[20:21], 0
	; wave barrier
	ds_write_b128 v0, v[7:10]
	s_waitcnt lgkmcnt(0)
	; wave barrier
.LBB27_10:
	s_and_b64 vcc, exec, s[20:21]
	s_cbranch_vccz .LBB27_20
; %bb.11:
	s_mov_b32 s18, 0
	v_mov_b32_e32 v0, 0
	s_branch .LBB27_13
.LBB27_12:                              ;   in Loop: Header=BB27_13 Depth=1
	s_andn2_b64 vcc, exec, s[14:15]
	s_cbranch_vccz .LBB27_19
.LBB27_13:                              ; =>This Inner Loop Header: Depth=1
	v_mov_b32_e32 v8, v4
	v_mov_b32_e32 v10, v6
	;; [unrolled: 1-line block ×4, first 2 shown]
	v_lshrrev_b64 v[1:2], s18, v[7:8]
	s_sub_i32 s14, 64, s18
	v_lshlrev_b64 v[2:3], s14, v[9:10]
	s_sub_i32 s14, s18, 64
	v_or_b32_e32 v3, v1, v2
	v_lshrrev_b64 v[1:2], s14, v[9:10]
	s_cmp_lt_u32 s18, 64
	s_cselect_b64 vcc, -1, 0
	s_cmp_eq_u32 s18, 0
	v_cndmask_b32_e32 v1, v1, v3, vcc
	s_cselect_b64 vcc, -1, 0
	v_cndmask_b32_e32 v2, v1, v7, vcc
	v_and_b32_e32 v1, 0xff, v2
	v_lshl_add_u32 v5, v1, 2, v22
	v_and_b32_e32 v1, 1, v2
	v_add_co_u32_e32 v3, vcc, -1, v1
	v_addc_co_u32_e64 v4, s[14:15], 0, -1, vcc
	v_cmp_ne_u32_e32 vcc, 0, v1
	v_xor_b32_e32 v1, vcc_hi, v4
	v_and_b32_e32 v4, exec_hi, v1
	v_lshlrev_b32_e32 v1, 30, v2
	v_xor_b32_e32 v3, vcc_lo, v3
	v_cmp_gt_i64_e32 vcc, 0, v[0:1]
	v_not_b32_e32 v1, v1
	v_ashrrev_i32_e32 v1, 31, v1
	v_and_b32_e32 v3, exec_lo, v3
	v_xor_b32_e32 v6, vcc_hi, v1
	v_xor_b32_e32 v1, vcc_lo, v1
	v_and_b32_e32 v3, v3, v1
	v_lshlrev_b32_e32 v1, 29, v2
	v_cmp_gt_i64_e32 vcc, 0, v[0:1]
	v_not_b32_e32 v1, v1
	v_ashrrev_i32_e32 v1, 31, v1
	v_and_b32_e32 v4, v4, v6
	v_xor_b32_e32 v6, vcc_hi, v1
	v_xor_b32_e32 v1, vcc_lo, v1
	v_and_b32_e32 v3, v3, v1
	v_lshlrev_b32_e32 v1, 28, v2
	v_cmp_gt_i64_e32 vcc, 0, v[0:1]
	v_not_b32_e32 v1, v1
	v_ashrrev_i32_e32 v1, 31, v1
	v_and_b32_e32 v4, v4, v6
	;; [unrolled: 8-line block ×5, first 2 shown]
	v_xor_b32_e32 v6, vcc_hi, v1
	v_xor_b32_e32 v1, vcc_lo, v1
	v_and_b32_e32 v3, v3, v1
	v_lshlrev_b32_e32 v1, 24, v2
	v_cmp_gt_i64_e32 vcc, 0, v[0:1]
	v_not_b32_e32 v1, v1
	v_ashrrev_i32_e32 v1, 31, v1
	v_xor_b32_e32 v2, vcc_hi, v1
	v_xor_b32_e32 v1, vcc_lo, v1
	v_and_b32_e32 v4, v4, v6
	v_and_b32_e32 v1, v3, v1
	;; [unrolled: 1-line block ×3, first 2 shown]
	v_mbcnt_lo_u32_b32 v3, v1, 0
	v_mbcnt_hi_u32_b32 v6, v2, v3
	v_cmp_ne_u64_e32 vcc, 0, v[1:2]
	v_cmp_eq_u32_e64 s[14:15], 0, v6
	s_and_b64 s[20:21], vcc, s[14:15]
	ds_write2_b32 v19, v0, v0 offset0:1 offset1:2
	ds_write2_b32 v19, v0, v0 offset0:3 offset1:4
	s_waitcnt lgkmcnt(0)
	; wave barrier
	; wave barrier
	s_and_saveexec_b64 s[14:15], s[20:21]
; %bb.14:                               ;   in Loop: Header=BB27_13 Depth=1
	v_bcnt_u32_b32 v1, v1, 0
	v_bcnt_u32_b32 v1, v2, v1
	ds_write_b32 v5, v1 offset:4
; %bb.15:                               ;   in Loop: Header=BB27_13 Depth=1
	s_or_b64 exec, exec, s[14:15]
	; wave barrier
	s_waitcnt lgkmcnt(0)
	; wave barrier
	ds_read2_b32 v[3:4], v19 offset0:1 offset1:2
	ds_read2_b32 v[1:2], v19 offset0:3 offset1:4
	s_waitcnt lgkmcnt(1)
	v_add_u32_e32 v11, v4, v3
	s_waitcnt lgkmcnt(0)
	v_add3_u32 v2, v11, v1, v2
	s_nop 1
	v_mov_b32_dpp v11, v2 row_shr:1 row_mask:0xf bank_mask:0xf
	v_cndmask_b32_e64 v11, v11, 0, s[4:5]
	v_add_u32_e32 v2, v11, v2
	s_nop 1
	v_mov_b32_dpp v11, v2 row_shr:2 row_mask:0xf bank_mask:0xf
	v_cndmask_b32_e64 v11, 0, v11, s[6:7]
	v_add_u32_e32 v2, v2, v11
	;; [unrolled: 4-line block ×4, first 2 shown]
	s_nop 1
	v_mov_b32_dpp v11, v2 row_bcast:15 row_mask:0xf bank_mask:0xf
	v_cndmask_b32_e64 v11, v11, 0, s[12:13]
	v_add_u32_e32 v2, v2, v11
	s_nop 1
	v_mov_b32_dpp v11, v2 row_bcast:31 row_mask:0xf bank_mask:0xf
	v_cndmask_b32_e64 v11, 0, v11, s[2:3]
	v_add_u32_e32 v2, v2, v11
	s_and_saveexec_b64 s[14:15], s[0:1]
; %bb.16:                               ;   in Loop: Header=BB27_13 Depth=1
	ds_write_b32 v0, v2
; %bb.17:                               ;   in Loop: Header=BB27_13 Depth=1
	s_or_b64 exec, exec, s[14:15]
	ds_bpermute_b32 v2, v21, v2
	s_waitcnt lgkmcnt(0)
	; wave barrier
	s_cmpk_gt_u32 s18, 0x77
	s_mov_b64 s[14:15], -1
	v_cndmask_b32_e64 v2, v2, 0, s[16:17]
	v_add_u32_e32 v3, v2, v3
	v_add_u32_e32 v4, v3, v4
	;; [unrolled: 1-line block ×3, first 2 shown]
	ds_write2_b32 v19, v2, v3 offset0:1 offset1:2
	ds_write2_b32 v19, v4, v1 offset0:3 offset1:4
	s_waitcnt lgkmcnt(0)
	; wave barrier
	ds_read_b32 v1, v5 offset:4
	s_waitcnt lgkmcnt(0)
	v_add_u32_e32 v1, v1, v6
                                        ; implicit-def: $vgpr3_vgpr4
	s_cbranch_scc1 .LBB27_12
; %bb.18:                               ;   in Loop: Header=BB27_13 Depth=1
	v_lshlrev_b32_e32 v2, 4, v1
	; wave barrier
	ds_write_b128 v2, v[7:10]
	s_waitcnt lgkmcnt(0)
	; wave barrier
	ds_read_b128 v[3:6], v20
	s_add_i32 s18, s18, 8
	s_mov_b64 s[14:15], 0
	s_waitcnt lgkmcnt(0)
	; wave barrier
	s_branch .LBB27_12
.LBB27_19:
	v_lshlrev_b32_e32 v0, 4, v1
	; wave barrier
	ds_write_b128 v0, v[7:10]
	s_waitcnt lgkmcnt(0)
	; wave barrier
.LBB27_20:
	ds_read_b128 v[0:3], v19
	s_waitcnt lgkmcnt(0)
	v_xor_b32_e32 v3, 0x80000000, v3
	global_store_dwordx4 v[15:16], v[0:3], off
	s_endpgm
	.section	.rodata,"a",@progbits
	.p2align	6, 0x0
	.amdhsa_kernel _Z15sort_key_kernelILj64ELj1ELb0ELb0EnEvPT3_jj
		.amdhsa_group_segment_fixed_size 1040
		.amdhsa_private_segment_fixed_size 0
		.amdhsa_kernarg_size 272
		.amdhsa_user_sgpr_count 6
		.amdhsa_user_sgpr_private_segment_buffer 1
		.amdhsa_user_sgpr_dispatch_ptr 0
		.amdhsa_user_sgpr_queue_ptr 0
		.amdhsa_user_sgpr_kernarg_segment_ptr 1
		.amdhsa_user_sgpr_dispatch_id 0
		.amdhsa_user_sgpr_flat_scratch_init 0
		.amdhsa_user_sgpr_private_segment_size 0
		.amdhsa_uses_dynamic_stack 0
		.amdhsa_system_sgpr_private_segment_wavefront_offset 0
		.amdhsa_system_sgpr_workgroup_id_x 1
		.amdhsa_system_sgpr_workgroup_id_y 0
		.amdhsa_system_sgpr_workgroup_id_z 0
		.amdhsa_system_sgpr_workgroup_info 0
		.amdhsa_system_vgpr_workitem_id 2
		.amdhsa_next_free_vgpr 23
		.amdhsa_next_free_sgpr 28
		.amdhsa_reserve_vcc 1
		.amdhsa_reserve_flat_scratch 0
		.amdhsa_float_round_mode_32 0
		.amdhsa_float_round_mode_16_64 0
		.amdhsa_float_denorm_mode_32 3
		.amdhsa_float_denorm_mode_16_64 3
		.amdhsa_dx10_clamp 1
		.amdhsa_ieee_mode 1
		.amdhsa_fp16_overflow 0
		.amdhsa_exception_fp_ieee_invalid_op 0
		.amdhsa_exception_fp_denorm_src 0
		.amdhsa_exception_fp_ieee_div_zero 0
		.amdhsa_exception_fp_ieee_overflow 0
		.amdhsa_exception_fp_ieee_underflow 0
		.amdhsa_exception_fp_ieee_inexact 0
		.amdhsa_exception_int_div_zero 0
	.end_amdhsa_kernel
	.section	.text._Z15sort_key_kernelILj64ELj1ELb0ELb0EnEvPT3_jj,"axG",@progbits,_Z15sort_key_kernelILj64ELj1ELb0ELb0EnEvPT3_jj,comdat
.Lfunc_end27:
	.size	_Z15sort_key_kernelILj64ELj1ELb0ELb0EnEvPT3_jj, .Lfunc_end27-_Z15sort_key_kernelILj64ELj1ELb0ELb0EnEvPT3_jj
                                        ; -- End function
	.set _Z15sort_key_kernelILj64ELj1ELb0ELb0EnEvPT3_jj.num_vgpr, 23
	.set _Z15sort_key_kernelILj64ELj1ELb0ELb0EnEvPT3_jj.num_agpr, 0
	.set _Z15sort_key_kernelILj64ELj1ELb0ELb0EnEvPT3_jj.numbered_sgpr, 28
	.set _Z15sort_key_kernelILj64ELj1ELb0ELb0EnEvPT3_jj.num_named_barrier, 0
	.set _Z15sort_key_kernelILj64ELj1ELb0ELb0EnEvPT3_jj.private_seg_size, 0
	.set _Z15sort_key_kernelILj64ELj1ELb0ELb0EnEvPT3_jj.uses_vcc, 1
	.set _Z15sort_key_kernelILj64ELj1ELb0ELb0EnEvPT3_jj.uses_flat_scratch, 0
	.set _Z15sort_key_kernelILj64ELj1ELb0ELb0EnEvPT3_jj.has_dyn_sized_stack, 0
	.set _Z15sort_key_kernelILj64ELj1ELb0ELb0EnEvPT3_jj.has_recursion, 0
	.set _Z15sort_key_kernelILj64ELj1ELb0ELb0EnEvPT3_jj.has_indirect_call, 0
	.section	.AMDGPU.csdata,"",@progbits
; Kernel info:
; codeLenInByte = 1932
; TotalNumSgprs: 32
; NumVgprs: 23
; ScratchSize: 0
; MemoryBound: 0
; FloatMode: 240
; IeeeMode: 1
; LDSByteSize: 1040 bytes/workgroup (compile time only)
; SGPRBlocks: 3
; VGPRBlocks: 5
; NumSGPRsForWavesPerEU: 32
; NumVGPRsForWavesPerEU: 23
; Occupancy: 10
; WaveLimiterHint : 0
; COMPUTE_PGM_RSRC2:SCRATCH_EN: 0
; COMPUTE_PGM_RSRC2:USER_SGPR: 6
; COMPUTE_PGM_RSRC2:TRAP_HANDLER: 0
; COMPUTE_PGM_RSRC2:TGID_X_EN: 1
; COMPUTE_PGM_RSRC2:TGID_Y_EN: 0
; COMPUTE_PGM_RSRC2:TGID_Z_EN: 0
; COMPUTE_PGM_RSRC2:TIDIG_COMP_CNT: 2
	.section	.text._Z21sort_key_value_kernelILj255ELj1ELb1ELb0EN10test_utils16custom_test_typeIhEEfEvPT3_PT4_jj,"axG",@progbits,_Z21sort_key_value_kernelILj255ELj1ELb1ELb0EN10test_utils16custom_test_typeIhEEfEvPT3_PT4_jj,comdat
	.protected	_Z21sort_key_value_kernelILj255ELj1ELb1ELb0EN10test_utils16custom_test_typeIhEEfEvPT3_PT4_jj ; -- Begin function _Z21sort_key_value_kernelILj255ELj1ELb1ELb0EN10test_utils16custom_test_typeIhEEfEvPT3_PT4_jj
	.globl	_Z21sort_key_value_kernelILj255ELj1ELb1ELb0EN10test_utils16custom_test_typeIhEEfEvPT3_PT4_jj
	.p2align	8
	.type	_Z21sort_key_value_kernelILj255ELj1ELb1ELb0EN10test_utils16custom_test_typeIhEEfEvPT3_PT4_jj,@function
_Z21sort_key_value_kernelILj255ELj1ELb1ELb0EN10test_utils16custom_test_typeIhEEfEvPT3_PT4_jj: ; @_Z21sort_key_value_kernelILj255ELj1ELb1ELb0EN10test_utils16custom_test_typeIhEEfEvPT3_PT4_jj
; %bb.0:
	s_load_dwordx4 s[0:3], s[4:5], 0x0
	s_load_dwordx2 s[38:39], s[4:5], 0x10
	s_mul_i32 s40, s6, 0xff
	s_mov_b32 s41, 0
	s_lshl_b64 s[4:5], s[40:41], 1
	s_waitcnt lgkmcnt(0)
	s_add_u32 s34, s0, s4
	s_addc_u32 s35, s1, s5
	s_lshl_b64 s[0:1], s[40:41], 2
	v_lshlrev_b32_e32 v18, 1, v0
	s_add_u32 s36, s2, s0
	global_load_ushort v19, v18, s[34:35]
	s_addc_u32 s37, s3, s1
	v_lshlrev_b32_e32 v14, 2, v0
	global_load_dword v17, v14, s[36:37]
	s_cmp_lg_u32 s38, 0
	s_cselect_b64 s[4:5], -1, 0
	s_cmp_lg_u32 s39, 16
	s_cselect_b64 s[6:7], -1, 0
	s_or_b64 s[4:5], s[4:5], s[6:7]
	s_movk_i32 s33, 0xff
	v_mov_b32_e32 v9, 0
	v_mbcnt_lo_u32_b32 v21, -1, 0
	v_lshlrev_b32_e32 v13, 5, v0
	v_cmp_gt_u32_e64 s[0:1], 4, v0
	v_cmp_lt_u32_e64 s[2:3], 63, v0
	v_lshrrev_b32_e32 v16, 4, v0
	v_mov_b32_e32 v10, s35
	v_mov_b32_e32 v12, s37
	s_and_b64 vcc, exec, s[4:5]
	s_waitcnt vmcnt(1)
	v_lshrrev_b16_e32 v20, 8, v19
	s_cbranch_vccz .LBB28_18
; %bb.1:
	v_mbcnt_hi_u32_b32 v1, -1, v21
	v_and_b32_e32 v2, 15, v1
	v_cmp_eq_u32_e64 s[4:5], 0, v2
	v_cmp_lt_u32_e64 s[6:7], 1, v2
	v_cmp_lt_u32_e64 s[8:9], 3, v2
	;; [unrolled: 1-line block ×3, first 2 shown]
	v_and_b32_e32 v2, 16, v1
	v_cmp_eq_u32_e64 s[12:13], 0, v2
	v_and_b32_e32 v2, 0xc0, v0
	v_min_u32_e32 v2, 0xbf, v2
	v_add_u32_e32 v2, 63, v2
	v_cmp_eq_u32_e64 s[16:17], v0, v2
	v_subrev_co_u32_e64 v2, s[18:19], 1, v1
	v_and_b32_e32 v3, 64, v1
	v_cmp_lt_i32_e32 vcc, v2, v3
	v_cmp_lt_u32_e64 s[14:15], 31, v1
	v_cndmask_b32_e32 v2, v2, v1, vcc
	v_and_b32_e32 v1, 3, v1
	s_movk_i32 s24, 0x3fc
	s_movk_i32 s26, 0x2fd
	;; [unrolled: 1-line block ×3, first 2 shown]
	s_sub_i32 s35, 0, s38
	s_sub_i32 s37, s39, s38
	v_lshlrev_b32_e32 v15, 2, v2
	v_and_b32_e32 v22, 12, v16
	v_cmp_eq_u32_e64 s[20:21], 0, v1
	v_cmp_lt_u32_e64 s[22:23], 1, v1
	v_sub_u32_e32 v11, v14, v18
	v_cmp_gt_u32_e64 s[24:25], s24, v0
	v_cmp_gt_u32_e64 s[26:27], s26, v0
	;; [unrolled: 1-line block ×4, first 2 shown]
	v_add_u32_e32 v24, 0x7f8, v14
	s_mov_b32 s40, s37
	s_mov_b32 s44, s35
	v_mov_b32_e32 v26, v20
	v_mov_b32_e32 v25, v19
	s_waitcnt vmcnt(0)
	v_mov_b32_e32 v3, v17
	s_branch .LBB28_3
.LBB28_2:                               ;   in Loop: Header=BB28_3 Depth=1
	s_andn2_b64 vcc, exec, s[42:43]
	s_cbranch_vccz .LBB28_19
.LBB28_3:                               ; =>This Inner Loop Header: Depth=1
	v_mov_b32_e32 v23, v3
	ds_write2_b32 v14, v9, v9 offset1:255
	ds_write2_b32 v24, v9, v9 offset1:255
	s_and_saveexec_b64 s[42:43], s[24:25]
	s_cbranch_execz .LBB28_8
; %bb.4:                                ;   in Loop: Header=BB28_3 Depth=1
	ds_write_b32 v14, v9 offset:4080
	s_and_b64 exec, exec, s[26:27]
	s_cbranch_execz .LBB28_8
; %bb.5:                                ;   in Loop: Header=BB28_3 Depth=1
	ds_write_b32 v14, v9 offset:5100
	s_and_b64 exec, exec, s[28:29]
	;; [unrolled: 4-line block ×3, first 2 shown]
; %bb.7:                                ;   in Loop: Header=BB28_3 Depth=1
	ds_write_b32 v14, v9 offset:7140
.LBB28_8:                               ;   in Loop: Header=BB28_3 Depth=1
	s_or_b64 exec, exec, s[42:43]
	s_max_i32 s43, s38, 0
	s_max_i32 s42, s44, 0
	s_min_u32 s46, s40, 4
	s_sub_i32 s45, s43, s42
	s_add_i32 s42, s35, s41
	s_add_i32 s50, s46, s38
	s_cmp_lt_i32 s38, 8
	s_cselect_b64 s[46:47], -1, 0
	s_cmp_gt_i32 s50, 0
	s_cselect_b64 s[48:49], -1, 0
	s_add_i32 s45, s42, s45
	s_add_i32 s45, s45, s50
	s_min_i32 s45, s45, 8
	s_max_i32 s51, s42, 0
	s_sub_i32 s45, s45, s43
	s_and_b64 vcc, s[46:47], s[48:49]
	s_cmp_lt_i32 s38, 16
	v_lshrrev_b32_sdwa v1, s43, v26 dst_sel:DWORD dst_unused:UNUSED_PAD src0_sel:DWORD src1_sel:BYTE_0
	s_cselect_b64 s[46:47], -1, 0
	s_cmp_gt_i32 s50, 8
	v_bfe_u32 v1, v1, 0, s45
	s_cselect_b64 s[48:49], -1, 0
	v_lshlrev_b32_e32 v1, s51, v1
	s_and_b64 s[46:47], s[46:47], s[48:49]
	v_cndmask_b32_e32 v1, 0, v1, vcc
	s_and_b64 vcc, exec, s[46:47]
	s_cbranch_vccz .LBB28_10
; %bb.9:                                ;   in Loop: Header=BB28_3 Depth=1
	s_add_i32 s43, s37, s41
	s_max_i32 s45, s38, 8
	s_min_u32 s43, s43, 4
	s_add_i32 s45, s45, -8
	s_add_i32 s42, s42, 8
	s_add_i32 s43, s45, s43
	s_max_i32 s42, s42, 0
	s_sub_i32 s43, s43, s42
	s_min_i32 s43, s43, 8
	s_sub_i32 s43, s43, s45
	v_lshrrev_b32_sdwa v2, s45, v25 dst_sel:DWORD dst_unused:UNUSED_PAD src0_sel:DWORD src1_sel:BYTE_0
	v_bfe_u32 v2, v2, 0, s43
	v_lshl_or_b32 v1, v2, s42, v1
.LBB28_10:                              ;   in Loop: Header=BB28_3 Depth=1
	v_and_b32_e32 v2, 7, v1
	v_lshrrev_b32_e32 v1, 2, v1
	v_mad_u32_u24 v2, v2, s33, v0
	v_and_b32_e32 v1, 0x3ffffffe, v1
	v_lshl_add_u32 v27, v2, 2, v1
	ds_read_u16 v28, v27
	s_waitcnt lgkmcnt(0)
	v_add_u16_e32 v1, 1, v28
	ds_write_b16 v27, v1
	s_waitcnt lgkmcnt(0)
	s_barrier
	ds_read2_b64 v[5:8], v13 offset1:1
	ds_read2_b64 v[1:4], v13 offset0:2 offset1:3
	s_waitcnt lgkmcnt(1)
	v_add_u32_e32 v29, v6, v5
	v_add3_u32 v29, v29, v7, v8
	s_waitcnt lgkmcnt(0)
	v_add3_u32 v29, v29, v1, v2
	v_add3_u32 v4, v29, v3, v4
	s_nop 1
	v_mov_b32_dpp v29, v4 row_shr:1 row_mask:0xf bank_mask:0xf
	v_cndmask_b32_e64 v29, v29, 0, s[4:5]
	v_add_u32_e32 v4, v29, v4
	s_nop 1
	v_mov_b32_dpp v29, v4 row_shr:2 row_mask:0xf bank_mask:0xf
	v_cndmask_b32_e64 v29, 0, v29, s[6:7]
	v_add_u32_e32 v4, v4, v29
	;; [unrolled: 4-line block ×4, first 2 shown]
	s_nop 1
	v_mov_b32_dpp v29, v4 row_bcast:15 row_mask:0xf bank_mask:0xf
	v_cndmask_b32_e64 v29, v29, 0, s[12:13]
	v_add_u32_e32 v4, v4, v29
	s_nop 1
	v_mov_b32_dpp v29, v4 row_bcast:31 row_mask:0xf bank_mask:0xf
	v_cndmask_b32_e64 v29, 0, v29, s[14:15]
	v_add_u32_e32 v4, v4, v29
	s_and_saveexec_b64 s[42:43], s[16:17]
	s_xor_b64 s[42:43], exec, s[42:43]
; %bb.11:                               ;   in Loop: Header=BB28_3 Depth=1
	ds_write_b32 v22, v4 offset:8160
; %bb.12:                               ;   in Loop: Header=BB28_3 Depth=1
	s_or_b64 exec, exec, s[42:43]
	s_waitcnt lgkmcnt(0)
	s_barrier
	s_and_saveexec_b64 s[42:43], s[0:1]
	s_cbranch_execz .LBB28_14
; %bb.13:                               ;   in Loop: Header=BB28_3 Depth=1
	ds_read_b32 v29, v14 offset:8160
	s_waitcnt lgkmcnt(0)
	s_nop 0
	v_mov_b32_dpp v30, v29 row_shr:1 row_mask:0xf bank_mask:0xf
	v_cndmask_b32_e64 v30, v30, 0, s[20:21]
	v_add_u32_e32 v29, v30, v29
	s_nop 1
	v_mov_b32_dpp v30, v29 row_shr:2 row_mask:0xf bank_mask:0xf
	v_cndmask_b32_e64 v30, 0, v30, s[22:23]
	v_add_u32_e32 v29, v29, v30
	ds_write_b32 v14, v29 offset:8160
.LBB28_14:                              ;   in Loop: Header=BB28_3 Depth=1
	s_or_b64 exec, exec, s[42:43]
	v_mov_b32_e32 v29, 0
	s_waitcnt lgkmcnt(0)
	s_barrier
	s_and_saveexec_b64 s[42:43], s[2:3]
; %bb.15:                               ;   in Loop: Header=BB28_3 Depth=1
	ds_read_b32 v29, v22 offset:8156
; %bb.16:                               ;   in Loop: Header=BB28_3 Depth=1
	s_or_b64 exec, exec, s[42:43]
	s_waitcnt lgkmcnt(0)
	v_add_u32_e32 v4, v29, v4
	ds_bpermute_b32 v4, v15, v4
	ds_read_b32 v30, v9 offset:8172
	v_and_b32_e32 v31, 0xffff, v28
	v_lshlrev_b16_e32 v26, 8, v26
	s_add_i32 s38, s38, 4
	s_waitcnt lgkmcnt(1)
	v_cndmask_b32_e64 v4, v4, v29, s[18:19]
	s_waitcnt lgkmcnt(0)
	v_lshl_add_u32 v4, v30, 16, v4
	v_add_u32_e32 v5, v4, v5
	v_add_u32_e32 v6, v5, v6
	;; [unrolled: 1-line block ×7, first 2 shown]
	ds_write2_b64 v13, v[4:5], v[6:7] offset1:1
	ds_write2_b64 v13, v[28:29], v[1:2] offset0:2 offset1:3
	s_waitcnt lgkmcnt(0)
	s_barrier
	ds_read_u16 v1, v27
	v_or_b32_sdwa v2, v26, v25 dst_sel:DWORD dst_unused:UNUSED_PAD src0_sel:DWORD src1_sel:BYTE_0
	s_cmp_ge_u32 s38, s39
	s_mov_b64 s[42:43], -1
	s_waitcnt lgkmcnt(0)
	v_add_lshl_u32 v1, v1, v31, 1
                                        ; implicit-def: $vgpr3
                                        ; implicit-def: $vgpr25
                                        ; implicit-def: $vgpr26
	s_cbranch_scc1 .LBB28_2
; %bb.17:                               ;   in Loop: Header=BB28_3 Depth=1
	s_barrier
	ds_write_b16 v1, v2
	s_waitcnt lgkmcnt(0)
	s_barrier
	ds_read_u16 v25, v11
	v_add_u32_e32 v3, v1, v1
	s_waitcnt lgkmcnt(0)
	s_barrier
	ds_write_b32 v3, v23
	s_waitcnt lgkmcnt(0)
	s_barrier
	ds_read_b32 v3, v14
	v_lshrrev_b16_e32 v26, 8, v25
	s_add_i32 s41, s41, -4
	s_add_i32 s44, s44, -4
	;; [unrolled: 1-line block ×3, first 2 shown]
	s_mov_b64 s[42:43], 0
	s_waitcnt lgkmcnt(0)
	s_barrier
	s_branch .LBB28_2
.LBB28_18:
	s_mov_b64 s[0:1], -1
                                        ; implicit-def: $vgpr2
                                        ; implicit-def: $vgpr3
	s_branch .LBB28_20
.LBB28_19:
	s_barrier
	ds_write_b16 v1, v2
	s_waitcnt lgkmcnt(0)
	s_barrier
	ds_read_u16 v2, v11
	v_add_u32_e32 v1, v1, v1
	s_mov_b64 s[0:1], 0
	s_waitcnt lgkmcnt(0)
	s_barrier
	v_lshrrev_b16_e32 v3, 8, v2
	ds_write_b32 v1, v23
	s_waitcnt lgkmcnt(0)
	s_barrier
.LBB28_20:
	v_add_co_u32_e32 v9, vcc, s34, v18
	v_addc_co_u32_e32 v10, vcc, 0, v10, vcc
	v_add_co_u32_e32 v11, vcc, s36, v14
	v_addc_co_u32_e32 v12, vcc, 0, v12, vcc
	s_and_b64 vcc, exec, s[0:1]
	v_mov_b32_e32 v15, v14
	s_cbranch_vccz .LBB28_66
; %bb.21:
	s_movk_i32 s0, 0xffe4
	v_mad_i32_i24 v15, v0, s0, v13
	s_movk_i32 s0, 0x3fc
	v_mov_b32_e32 v1, 0
	v_add_u32_e32 v2, 0x7f8, v15
	v_cmp_gt_u32_e64 s[0:1], s0, v0
	ds_write2_b32 v15, v1, v1 offset1:255
	ds_write2_b32 v2, v1, v1 offset1:255
	s_and_saveexec_b64 s[2:3], s[0:1]
	s_cbranch_execz .LBB28_26
; %bb.22:
	s_movk_i32 s4, 0x2fd
	v_cmp_gt_u32_e32 vcc, s4, v0
	ds_write_b32 v15, v1 offset:4080
	s_and_b64 exec, exec, vcc
	s_cbranch_execz .LBB28_26
; %bb.23:
	s_movk_i32 s4, 0x1fe
	v_mov_b32_e32 v1, 0
	v_cmp_gt_u32_e32 vcc, s4, v0
	ds_write_b32 v15, v1 offset:5100
	s_and_b64 exec, exec, vcc
	s_cbranch_execz .LBB28_26
; %bb.24:
	s_movk_i32 s4, 0xff
	v_cmp_gt_u32_e32 vcc, s4, v0
	ds_write_b32 v15, v1 offset:6120
	s_and_b64 exec, exec, vcc
; %bb.25:
	v_mov_b32_e32 v1, 0
	ds_write_b32 v15, v1 offset:7140
.LBB28_26:
	s_or_b64 exec, exec, s[2:3]
	v_and_b32_e32 v1, 15, v20
	v_mov_b32_e32 v2, 7
	v_mov_b32_e32 v3, 2
	v_and_b32_sdwa v2, v1, v2 dst_sel:DWORD dst_unused:UNUSED_PAD src0_sel:WORD_0 src1_sel:DWORD
	s_movk_i32 s2, 0xff
	v_lshrrev_b32_sdwa v1, v3, v1 dst_sel:DWORD dst_unused:UNUSED_PAD src0_sel:DWORD src1_sel:WORD_0
	v_mad_u32_u24 v2, v2, s2, v0
	v_and_b32_e32 v1, 2, v1
	v_lshl_or_b32 v23, v2, 2, v1
	ds_read_u16 v24, v23
	v_mbcnt_hi_u32_b32 v22, -1, v21
	v_and_b32_e32 v1, 16, v22
	v_cmp_eq_u32_e32 vcc, 0, v1
	v_and_b32_e32 v1, 0xc0, v0
	s_waitcnt lgkmcnt(0)
	v_add_u16_e32 v2, 1, v24
	ds_write_b16 v23, v2
	s_waitcnt vmcnt(0) lgkmcnt(0)
	s_barrier
	ds_read2_b64 v[5:8], v13 offset1:1
	v_min_u32_e32 v1, 0xbf, v1
	v_add_u32_e32 v26, 63, v1
	ds_read2_b64 v[1:4], v13 offset0:2 offset1:3
	v_cmp_eq_u32_e64 s[2:3], v0, v26
	s_waitcnt lgkmcnt(1)
	v_add_u32_e32 v26, v6, v5
	v_add3_u32 v26, v26, v7, v8
	v_and_b32_e32 v21, 15, v22
	s_waitcnt lgkmcnt(0)
	v_add3_u32 v26, v26, v1, v2
	v_add3_u32 v4, v26, v3, v4
	v_cmp_eq_u32_e64 s[8:9], 0, v21
	v_cmp_lt_u32_e64 s[10:11], 1, v21
	v_mov_b32_dpp v26, v4 row_shr:1 row_mask:0xf bank_mask:0xf
	v_cndmask_b32_e64 v26, v26, 0, s[8:9]
	v_add_u32_e32 v4, v26, v4
	v_cmp_lt_u32_e64 s[12:13], 3, v21
	v_cmp_lt_u32_e64 s[16:17], 7, v21
	v_mov_b32_dpp v26, v4 row_shr:2 row_mask:0xf bank_mask:0xf
	v_cndmask_b32_e64 v26, 0, v26, s[10:11]
	v_add_u32_e32 v4, v4, v26
	v_bfe_i32 v25, v22, 4, 1
	v_cmp_lt_u32_e64 s[18:19], 31, v22
	v_mov_b32_dpp v26, v4 row_shr:4 row_mask:0xf bank_mask:0xf
	v_cndmask_b32_e64 v26, 0, v26, s[12:13]
	v_add_u32_e32 v4, v4, v26
	v_and_b32_e32 v16, 12, v16
	s_nop 0
	v_mov_b32_dpp v26, v4 row_shr:8 row_mask:0xf bank_mask:0xf
	v_cndmask_b32_e64 v21, 0, v26, s[16:17]
	v_add_u32_e32 v4, v4, v21
	s_nop 1
	v_mov_b32_dpp v21, v4 row_bcast:15 row_mask:0xf bank_mask:0xf
	v_and_b32_e32 v21, v25, v21
	v_add_u32_e32 v4, v4, v21
	s_nop 1
	v_mov_b32_dpp v21, v4 row_bcast:31 row_mask:0xf bank_mask:0xf
	v_cndmask_b32_e64 v21, 0, v21, s[18:19]
	v_add_u32_e32 v25, v4, v21
	s_and_saveexec_b64 s[4:5], s[2:3]
; %bb.27:
	ds_write_b32 v16, v25 offset:8160
; %bb.28:
	s_or_b64 exec, exec, s[4:5]
	v_and_b32_e32 v4, 3, v22
	v_cmp_gt_u32_e64 s[14:15], 4, v0
	v_cmp_eq_u32_e64 s[6:7], 0, v4
	v_cmp_lt_u32_e64 s[4:5], 1, v4
	s_waitcnt lgkmcnt(0)
	s_barrier
	s_and_saveexec_b64 s[20:21], s[14:15]
	s_cbranch_execz .LBB28_30
; %bb.29:
	ds_read_b32 v4, v15 offset:8160
	s_waitcnt lgkmcnt(0)
	s_nop 0
	v_mov_b32_dpp v21, v4 row_shr:1 row_mask:0xf bank_mask:0xf
	v_cndmask_b32_e64 v21, v21, 0, s[6:7]
	v_add_u32_e32 v4, v21, v4
	s_nop 1
	v_mov_b32_dpp v21, v4 row_shr:2 row_mask:0xf bank_mask:0xf
	v_cndmask_b32_e64 v21, 0, v21, s[4:5]
	v_add_u32_e32 v4, v4, v21
	ds_write_b32 v15, v4 offset:8160
.LBB28_30:
	s_or_b64 exec, exec, s[20:21]
	v_sub_u32_e32 v18, v15, v18
	v_cmp_lt_u32_e64 s[20:21], 63, v0
	v_mov_b32_e32 v4, 0
	v_mov_b32_e32 v26, 0
	s_waitcnt lgkmcnt(0)
	s_barrier
	s_and_saveexec_b64 s[22:23], s[20:21]
; %bb.31:
	ds_read_b32 v26, v16 offset:8156
; %bb.32:
	s_or_b64 exec, exec, s[22:23]
	v_add_u32_e32 v21, -1, v22
	v_and_b32_e32 v27, 64, v22
	v_cmp_lt_i32_e64 s[22:23], v21, v27
	v_cndmask_b32_e64 v21, v21, v22, s[22:23]
	v_lshlrev_b32_e32 v21, 2, v21
	s_waitcnt lgkmcnt(0)
	v_add_u32_e32 v25, v26, v25
	ds_bpermute_b32 v25, v21, v25
	ds_read_b32 v27, v4 offset:8172
	v_lshlrev_b16_e32 v20, 8, v20
	v_cmp_eq_u32_e64 s[22:23], 0, v22
	v_or_b32_sdwa v28, v20, v19 dst_sel:DWORD dst_unused:UNUSED_PAD src0_sel:DWORD src1_sel:BYTE_0
	s_waitcnt lgkmcnt(1)
	v_cndmask_b32_e64 v19, v25, v26, s[22:23]
	s_waitcnt lgkmcnt(0)
	v_lshl_add_u32 v19, v27, 16, v19
	v_add_u32_e32 v20, v19, v5
	v_add_u32_e32 v5, v20, v6
	;; [unrolled: 1-line block ×7, first 2 shown]
	ds_write2_b64 v13, v[19:20], v[5:6] offset1:1
	ds_write2_b64 v13, v[7:8], v[1:2] offset0:2 offset1:3
	s_waitcnt lgkmcnt(0)
	s_barrier
	ds_read_u16 v1, v23
	v_and_b32_e32 v2, 0xffff, v24
	s_waitcnt lgkmcnt(0)
	s_barrier
	v_add_lshl_u32 v1, v1, v2, 1
	ds_write_b16 v1, v28
	v_add_u32_e32 v1, v1, v1
	s_waitcnt lgkmcnt(0)
	s_barrier
	ds_read_u16 v19, v18
	s_waitcnt lgkmcnt(0)
	s_barrier
	ds_write_b32 v1, v17
	s_waitcnt lgkmcnt(0)
	s_barrier
	ds_read_b32 v17, v15
	s_movk_i32 s28, 0xff
	v_add_u32_e32 v1, 0x7f8, v14
	s_waitcnt lgkmcnt(0)
	s_barrier
	ds_write2_b32 v14, v4, v4 offset1:255
	ds_write2_b32 v1, v4, v4 offset1:255
	s_and_saveexec_b64 s[26:27], s[0:1]
	s_cbranch_execz .LBB28_37
; %bb.33:
	s_movk_i32 s24, 0x2fd
	v_mov_b32_e32 v1, 0
	v_cmp_gt_u32_e64 s[24:25], s24, v0
	ds_write_b32 v14, v1 offset:4080
	s_and_b64 exec, exec, s[24:25]
	s_cbranch_execz .LBB28_37
; %bb.34:
	s_movk_i32 s24, 0x1fe
	v_cmp_gt_u32_e64 s[24:25], s24, v0
	ds_write_b32 v14, v1 offset:5100
	s_and_b64 exec, exec, s[24:25]
	s_cbranch_execz .LBB28_37
; %bb.35:
	s_movk_i32 s24, 0xff
	v_mov_b32_e32 v1, 0
	v_cmp_gt_u32_e64 s[24:25], s24, v0
	ds_write_b32 v14, v1 offset:6120
	s_and_b64 exec, exec, s[24:25]
; %bb.36:
	ds_write_b32 v14, v1 offset:7140
.LBB28_37:
	s_or_b64 exec, exec, s[26:27]
	v_mov_b32_e32 v1, 4
	v_lshrrev_b16_sdwa v1, v1, v19 dst_sel:DWORD dst_unused:UNUSED_PAD src0_sel:DWORD src1_sel:BYTE_1
	v_and_b32_e32 v2, 7, v1
	v_lshrrev_b32_e32 v1, 2, v1
	v_mad_u32_u24 v2, v2, s28, v0
	v_and_b32_e32 v1, 2, v1
	v_lshl_or_b32 v20, v2, 2, v1
	ds_read_u16 v22, v20
	s_waitcnt lgkmcnt(0)
	v_add_u16_e32 v1, 1, v22
	ds_write_b16 v20, v1
	s_waitcnt lgkmcnt(0)
	s_barrier
	ds_read2_b64 v[5:8], v13 offset1:1
	ds_read2_b64 v[1:4], v13 offset0:2 offset1:3
	s_waitcnt lgkmcnt(1)
	v_add_u32_e32 v23, v6, v5
	v_add3_u32 v23, v23, v7, v8
	s_waitcnt lgkmcnt(0)
	v_add3_u32 v23, v23, v1, v2
	v_add3_u32 v4, v23, v3, v4
	s_nop 1
	v_mov_b32_dpp v23, v4 row_shr:1 row_mask:0xf bank_mask:0xf
	v_cndmask_b32_e64 v23, v23, 0, s[8:9]
	v_add_u32_e32 v4, v23, v4
	s_nop 1
	v_mov_b32_dpp v23, v4 row_shr:2 row_mask:0xf bank_mask:0xf
	v_cndmask_b32_e64 v23, 0, v23, s[10:11]
	v_add_u32_e32 v4, v4, v23
	;; [unrolled: 4-line block ×4, first 2 shown]
	s_nop 1
	v_mov_b32_dpp v23, v4 row_bcast:15 row_mask:0xf bank_mask:0xf
	v_cndmask_b32_e64 v23, v23, 0, vcc
	v_add_u32_e32 v4, v4, v23
	s_nop 1
	v_mov_b32_dpp v23, v4 row_bcast:31 row_mask:0xf bank_mask:0xf
	v_cndmask_b32_e64 v23, 0, v23, s[18:19]
	v_add_u32_e32 v23, v4, v23
	s_and_saveexec_b64 s[24:25], s[2:3]
; %bb.38:
	ds_write_b32 v16, v23 offset:8160
; %bb.39:
	s_or_b64 exec, exec, s[24:25]
	s_waitcnt lgkmcnt(0)
	s_barrier
	s_and_saveexec_b64 s[24:25], s[14:15]
	s_cbranch_execz .LBB28_41
; %bb.40:
	ds_read_b32 v4, v15 offset:8160
	s_waitcnt lgkmcnt(0)
	s_nop 0
	v_mov_b32_dpp v24, v4 row_shr:1 row_mask:0xf bank_mask:0xf
	v_cndmask_b32_e64 v24, v24, 0, s[6:7]
	v_add_u32_e32 v4, v24, v4
	s_nop 1
	v_mov_b32_dpp v24, v4 row_shr:2 row_mask:0xf bank_mask:0xf
	v_cndmask_b32_e64 v24, 0, v24, s[4:5]
	v_add_u32_e32 v4, v4, v24
	ds_write_b32 v15, v4 offset:8160
.LBB28_41:
	s_or_b64 exec, exec, s[24:25]
	v_mov_b32_e32 v4, 0
	v_mov_b32_e32 v24, 0
	s_waitcnt lgkmcnt(0)
	s_barrier
	s_and_saveexec_b64 s[24:25], s[20:21]
; %bb.42:
	ds_read_b32 v24, v16 offset:8156
; %bb.43:
	s_or_b64 exec, exec, s[24:25]
	s_waitcnt lgkmcnt(0)
	v_add_u32_e32 v23, v24, v23
	ds_bpermute_b32 v23, v21, v23
	ds_read_b32 v25, v4 offset:8172
	v_mov_b32_e32 v26, 8
	v_lshlrev_b16_sdwa v26, v26, v19 dst_sel:DWORD dst_unused:UNUSED_PAD src0_sel:DWORD src1_sel:BYTE_1
	v_or_b32_sdwa v19, v26, v19 dst_sel:DWORD dst_unused:UNUSED_PAD src0_sel:DWORD src1_sel:BYTE_0
	s_waitcnt lgkmcnt(1)
	v_cndmask_b32_e64 v23, v23, v24, s[22:23]
	s_waitcnt lgkmcnt(0)
	v_lshl_add_u32 v23, v25, 16, v23
	v_add_u32_e32 v24, v23, v5
	v_add_u32_e32 v5, v24, v6
	;; [unrolled: 1-line block ×7, first 2 shown]
	ds_write2_b64 v13, v[23:24], v[5:6] offset1:1
	ds_write2_b64 v13, v[7:8], v[1:2] offset0:2 offset1:3
	s_waitcnt lgkmcnt(0)
	s_barrier
	ds_read_u16 v1, v20
	v_and_b32_e32 v2, 0xffff, v22
	s_waitcnt lgkmcnt(0)
	s_barrier
	v_add_lshl_u32 v1, v1, v2, 1
	ds_write_b16 v1, v19
	v_add_u32_e32 v1, v1, v1
	s_waitcnt lgkmcnt(0)
	s_barrier
	ds_read_u16 v19, v18
	s_waitcnt lgkmcnt(0)
	s_barrier
	ds_write_b32 v1, v17
	s_waitcnt lgkmcnt(0)
	s_barrier
	ds_read_b32 v17, v15
	v_add_u32_e32 v1, 0x7f8, v14
	s_waitcnt lgkmcnt(0)
	s_barrier
	ds_write2_b32 v14, v4, v4 offset1:255
	ds_write2_b32 v1, v4, v4 offset1:255
	s_and_saveexec_b64 s[26:27], s[0:1]
	s_cbranch_execz .LBB28_48
; %bb.44:
	s_movk_i32 s24, 0x2fd
	v_mov_b32_e32 v1, 0
	v_cmp_gt_u32_e64 s[24:25], s24, v0
	ds_write_b32 v14, v1 offset:4080
	s_and_b64 exec, exec, s[24:25]
	s_cbranch_execz .LBB28_48
; %bb.45:
	s_movk_i32 s24, 0x1fe
	v_cmp_gt_u32_e64 s[24:25], s24, v0
	ds_write_b32 v14, v1 offset:5100
	s_and_b64 exec, exec, s[24:25]
	s_cbranch_execz .LBB28_48
; %bb.46:
	s_movk_i32 s24, 0xff
	v_mov_b32_e32 v1, 0
	v_cmp_gt_u32_e64 s[24:25], s24, v0
	ds_write_b32 v14, v1 offset:6120
	s_and_b64 exec, exec, s[24:25]
; %bb.47:
	ds_write_b32 v14, v1 offset:7140
.LBB28_48:
	s_or_b64 exec, exec, s[26:27]
	v_and_b32_e32 v1, 15, v19
	v_mov_b32_e32 v2, 7
	v_mov_b32_e32 v3, 2
	v_and_b32_sdwa v2, v1, v2 dst_sel:DWORD dst_unused:UNUSED_PAD src0_sel:WORD_0 src1_sel:DWORD
	v_lshrrev_b32_sdwa v1, v3, v1 dst_sel:DWORD dst_unused:UNUSED_PAD src0_sel:DWORD src1_sel:WORD_0
	v_mad_u32_u24 v2, v2, s28, v0
	v_and_b32_e32 v1, 2, v1
	v_lshl_or_b32 v20, v2, 2, v1
	ds_read_u16 v22, v20
	s_waitcnt lgkmcnt(0)
	v_add_u16_e32 v1, 1, v22
	ds_write_b16 v20, v1
	s_waitcnt lgkmcnt(0)
	s_barrier
	ds_read2_b64 v[5:8], v13 offset1:1
	ds_read2_b64 v[1:4], v13 offset0:2 offset1:3
	s_waitcnt lgkmcnt(1)
	v_add_u32_e32 v23, v6, v5
	v_add3_u32 v23, v23, v7, v8
	s_waitcnt lgkmcnt(0)
	v_add3_u32 v23, v23, v1, v2
	v_add3_u32 v4, v23, v3, v4
	s_nop 1
	v_mov_b32_dpp v23, v4 row_shr:1 row_mask:0xf bank_mask:0xf
	v_cndmask_b32_e64 v23, v23, 0, s[8:9]
	v_add_u32_e32 v4, v23, v4
	s_nop 1
	v_mov_b32_dpp v23, v4 row_shr:2 row_mask:0xf bank_mask:0xf
	v_cndmask_b32_e64 v23, 0, v23, s[10:11]
	v_add_u32_e32 v4, v4, v23
	;; [unrolled: 4-line block ×4, first 2 shown]
	s_nop 1
	v_mov_b32_dpp v23, v4 row_bcast:15 row_mask:0xf bank_mask:0xf
	v_cndmask_b32_e64 v23, v23, 0, vcc
	v_add_u32_e32 v4, v4, v23
	s_nop 1
	v_mov_b32_dpp v23, v4 row_bcast:31 row_mask:0xf bank_mask:0xf
	v_cndmask_b32_e64 v23, 0, v23, s[18:19]
	v_add_u32_e32 v23, v4, v23
	s_and_saveexec_b64 s[24:25], s[2:3]
; %bb.49:
	ds_write_b32 v16, v23 offset:8160
; %bb.50:
	s_or_b64 exec, exec, s[24:25]
	s_waitcnt lgkmcnt(0)
	s_barrier
	s_and_saveexec_b64 s[24:25], s[14:15]
	s_cbranch_execz .LBB28_52
; %bb.51:
	ds_read_b32 v4, v15 offset:8160
	s_waitcnt lgkmcnt(0)
	s_nop 0
	v_mov_b32_dpp v24, v4 row_shr:1 row_mask:0xf bank_mask:0xf
	v_cndmask_b32_e64 v24, v24, 0, s[6:7]
	v_add_u32_e32 v4, v24, v4
	s_nop 1
	v_mov_b32_dpp v24, v4 row_shr:2 row_mask:0xf bank_mask:0xf
	v_cndmask_b32_e64 v24, 0, v24, s[4:5]
	v_add_u32_e32 v4, v4, v24
	ds_write_b32 v15, v4 offset:8160
.LBB28_52:
	s_or_b64 exec, exec, s[24:25]
	v_mov_b32_e32 v4, 0
	v_mov_b32_e32 v24, 0
	s_waitcnt lgkmcnt(0)
	s_barrier
	s_and_saveexec_b64 s[24:25], s[20:21]
; %bb.53:
	ds_read_b32 v24, v16 offset:8156
; %bb.54:
	s_or_b64 exec, exec, s[24:25]
	s_waitcnt lgkmcnt(0)
	v_add_u32_e32 v23, v24, v23
	ds_bpermute_b32 v23, v21, v23
	ds_read_b32 v25, v4 offset:8172
	v_mov_b32_e32 v26, 8
	v_lshlrev_b16_sdwa v26, v26, v19 dst_sel:DWORD dst_unused:UNUSED_PAD src0_sel:DWORD src1_sel:BYTE_1
	v_or_b32_sdwa v19, v26, v19 dst_sel:DWORD dst_unused:UNUSED_PAD src0_sel:DWORD src1_sel:BYTE_0
	s_waitcnt lgkmcnt(1)
	v_cndmask_b32_e64 v23, v23, v24, s[22:23]
	s_waitcnt lgkmcnt(0)
	v_lshl_add_u32 v23, v25, 16, v23
	v_add_u32_e32 v24, v23, v5
	v_add_u32_e32 v5, v24, v6
	;; [unrolled: 1-line block ×7, first 2 shown]
	ds_write2_b64 v13, v[23:24], v[5:6] offset1:1
	ds_write2_b64 v13, v[7:8], v[1:2] offset0:2 offset1:3
	s_waitcnt lgkmcnt(0)
	s_barrier
	ds_read_u16 v1, v20
	v_and_b32_e32 v2, 0xffff, v22
	s_waitcnt lgkmcnt(0)
	s_barrier
	v_add_lshl_u32 v1, v1, v2, 1
	ds_write_b16 v1, v19
	v_add_u32_e32 v1, v1, v1
	s_waitcnt lgkmcnt(0)
	s_barrier
	ds_read_u16 v19, v18
	s_waitcnt lgkmcnt(0)
	s_barrier
	ds_write_b32 v1, v17
	s_waitcnt lgkmcnt(0)
	s_barrier
	ds_read_b32 v8, v15
	v_add_u32_e32 v1, 0x7f8, v14
	s_waitcnt lgkmcnt(0)
	s_barrier
	ds_write2_b32 v14, v4, v4 offset1:255
	ds_write2_b32 v1, v4, v4 offset1:255
	s_and_saveexec_b64 s[24:25], s[0:1]
	s_cbranch_execz .LBB28_59
; %bb.55:
	s_movk_i32 s0, 0x2fd
	v_mov_b32_e32 v1, 0
	v_cmp_gt_u32_e64 s[0:1], s0, v0
	ds_write_b32 v14, v1 offset:4080
	s_and_b64 exec, exec, s[0:1]
	s_cbranch_execz .LBB28_59
; %bb.56:
	s_movk_i32 s0, 0x1fe
	v_cmp_gt_u32_e64 s[0:1], s0, v0
	ds_write_b32 v14, v1 offset:5100
	s_and_b64 exec, exec, s[0:1]
	s_cbranch_execz .LBB28_59
; %bb.57:
	s_movk_i32 s0, 0xff
	v_mov_b32_e32 v1, 0
	v_cmp_gt_u32_e64 s[0:1], s0, v0
	ds_write_b32 v14, v1 offset:6120
	s_and_b64 exec, exec, s[0:1]
; %bb.58:
	ds_write_b32 v14, v1 offset:7140
.LBB28_59:
	s_or_b64 exec, exec, s[24:25]
	v_mov_b32_e32 v1, 4
	v_lshrrev_b16_sdwa v1, v1, v19 dst_sel:DWORD dst_unused:UNUSED_PAD src0_sel:DWORD src1_sel:BYTE_0
	s_movk_i32 s0, 0xff
	v_and_b32_e32 v2, 7, v1
	v_lshrrev_b32_e32 v1, 2, v1
	v_mad_u32_u24 v0, v2, s0, v0
	v_and_b32_e32 v1, 2, v1
	v_lshl_or_b32 v14, v0, 2, v1
	ds_read_u16 v17, v14
	s_waitcnt lgkmcnt(0)
	v_add_u16_e32 v0, 1, v17
	ds_write_b16 v14, v0
	s_waitcnt lgkmcnt(0)
	s_barrier
	ds_read2_b64 v[4:7], v13 offset1:1
	ds_read2_b64 v[0:3], v13 offset0:2 offset1:3
	s_waitcnt lgkmcnt(1)
	v_add_u32_e32 v20, v5, v4
	v_add3_u32 v20, v20, v6, v7
	s_waitcnt lgkmcnt(0)
	v_add3_u32 v20, v20, v0, v1
	v_add3_u32 v3, v20, v2, v3
	s_nop 1
	v_mov_b32_dpp v20, v3 row_shr:1 row_mask:0xf bank_mask:0xf
	v_cndmask_b32_e64 v20, v20, 0, s[8:9]
	v_add_u32_e32 v3, v20, v3
	s_nop 1
	v_mov_b32_dpp v20, v3 row_shr:2 row_mask:0xf bank_mask:0xf
	v_cndmask_b32_e64 v20, 0, v20, s[10:11]
	v_add_u32_e32 v3, v3, v20
	;; [unrolled: 4-line block ×4, first 2 shown]
	s_nop 1
	v_mov_b32_dpp v20, v3 row_bcast:15 row_mask:0xf bank_mask:0xf
	v_cndmask_b32_e64 v20, v20, 0, vcc
	v_add_u32_e32 v3, v3, v20
	s_nop 1
	v_mov_b32_dpp v20, v3 row_bcast:31 row_mask:0xf bank_mask:0xf
	v_cndmask_b32_e64 v20, 0, v20, s[18:19]
	v_add_u32_e32 v3, v3, v20
	s_and_saveexec_b64 s[0:1], s[2:3]
; %bb.60:
	ds_write_b32 v16, v3 offset:8160
; %bb.61:
	s_or_b64 exec, exec, s[0:1]
	s_waitcnt lgkmcnt(0)
	s_barrier
	s_and_saveexec_b64 s[0:1], s[14:15]
	s_cbranch_execz .LBB28_63
; %bb.62:
	ds_read_b32 v20, v15 offset:8160
	s_waitcnt lgkmcnt(0)
	s_nop 0
	v_mov_b32_dpp v22, v20 row_shr:1 row_mask:0xf bank_mask:0xf
	v_cndmask_b32_e64 v22, v22, 0, s[6:7]
	v_add_u32_e32 v20, v22, v20
	s_nop 1
	v_mov_b32_dpp v22, v20 row_shr:2 row_mask:0xf bank_mask:0xf
	v_cndmask_b32_e64 v22, 0, v22, s[4:5]
	v_add_u32_e32 v20, v20, v22
	ds_write_b32 v15, v20 offset:8160
.LBB28_63:
	s_or_b64 exec, exec, s[0:1]
	v_mov_b32_e32 v22, 0
	v_mov_b32_e32 v20, 0
	s_waitcnt lgkmcnt(0)
	s_barrier
	s_and_saveexec_b64 s[0:1], s[20:21]
; %bb.64:
	ds_read_b32 v20, v16 offset:8156
; %bb.65:
	s_or_b64 exec, exec, s[0:1]
	s_waitcnt lgkmcnt(0)
	v_add_u32_e32 v3, v20, v3
	ds_bpermute_b32 v3, v21, v3
	ds_read_b32 v16, v22 offset:8172
	v_mov_b32_e32 v21, 8
	v_lshlrev_b16_sdwa v21, v21, v19 dst_sel:DWORD dst_unused:UNUSED_PAD src0_sel:DWORD src1_sel:BYTE_1
	v_or_b32_sdwa v21, v21, v19 dst_sel:DWORD dst_unused:UNUSED_PAD src0_sel:DWORD src1_sel:BYTE_0
	s_waitcnt lgkmcnt(1)
	v_cndmask_b32_e64 v3, v3, v20, s[22:23]
	s_waitcnt lgkmcnt(0)
	v_lshl_add_u32 v3, v16, 16, v3
	v_add_u32_e32 v4, v3, v4
	v_add_u32_e32 v5, v4, v5
	;; [unrolled: 1-line block ×7, first 2 shown]
	ds_write2_b64 v13, v[3:4], v[5:6] offset1:1
	ds_write2_b64 v13, v[19:20], v[0:1] offset0:2 offset1:3
	s_waitcnt lgkmcnt(0)
	s_barrier
	ds_read_u16 v0, v14
	v_and_b32_e32 v1, 0xffff, v17
	s_waitcnt lgkmcnt(0)
	s_barrier
	v_add_lshl_u32 v0, v0, v1, 1
	ds_write_b16 v0, v21
	s_waitcnt lgkmcnt(0)
	s_barrier
	ds_read_u16 v2, v18
	v_add_u32_e32 v0, v0, v0
	s_waitcnt lgkmcnt(0)
	s_barrier
	v_lshrrev_b16_e32 v3, 8, v2
	ds_write_b32 v0, v8
	s_waitcnt lgkmcnt(0)
	s_barrier
.LBB28_66:
	ds_read_b32 v0, v15
	v_lshlrev_b16_e32 v1, 8, v3
	v_or_b32_sdwa v1, v2, v1 dst_sel:DWORD dst_unused:UNUSED_PAD src0_sel:BYTE_0 src1_sel:DWORD
	global_store_short v[9:10], v1, off
	s_waitcnt lgkmcnt(0)
	global_store_dword v[11:12], v0, off
	s_endpgm
	.section	.rodata,"a",@progbits
	.p2align	6, 0x0
	.amdhsa_kernel _Z21sort_key_value_kernelILj255ELj1ELb1ELb0EN10test_utils16custom_test_typeIhEEfEvPT3_PT4_jj
		.amdhsa_group_segment_fixed_size 8176
		.amdhsa_private_segment_fixed_size 0
		.amdhsa_kernarg_size 24
		.amdhsa_user_sgpr_count 6
		.amdhsa_user_sgpr_private_segment_buffer 1
		.amdhsa_user_sgpr_dispatch_ptr 0
		.amdhsa_user_sgpr_queue_ptr 0
		.amdhsa_user_sgpr_kernarg_segment_ptr 1
		.amdhsa_user_sgpr_dispatch_id 0
		.amdhsa_user_sgpr_flat_scratch_init 0
		.amdhsa_user_sgpr_private_segment_size 0
		.amdhsa_uses_dynamic_stack 0
		.amdhsa_system_sgpr_private_segment_wavefront_offset 0
		.amdhsa_system_sgpr_workgroup_id_x 1
		.amdhsa_system_sgpr_workgroup_id_y 0
		.amdhsa_system_sgpr_workgroup_id_z 0
		.amdhsa_system_sgpr_workgroup_info 0
		.amdhsa_system_vgpr_workitem_id 0
		.amdhsa_next_free_vgpr 32
		.amdhsa_next_free_sgpr 61
		.amdhsa_reserve_vcc 1
		.amdhsa_reserve_flat_scratch 0
		.amdhsa_float_round_mode_32 0
		.amdhsa_float_round_mode_16_64 0
		.amdhsa_float_denorm_mode_32 3
		.amdhsa_float_denorm_mode_16_64 3
		.amdhsa_dx10_clamp 1
		.amdhsa_ieee_mode 1
		.amdhsa_fp16_overflow 0
		.amdhsa_exception_fp_ieee_invalid_op 0
		.amdhsa_exception_fp_denorm_src 0
		.amdhsa_exception_fp_ieee_div_zero 0
		.amdhsa_exception_fp_ieee_overflow 0
		.amdhsa_exception_fp_ieee_underflow 0
		.amdhsa_exception_fp_ieee_inexact 0
		.amdhsa_exception_int_div_zero 0
	.end_amdhsa_kernel
	.section	.text._Z21sort_key_value_kernelILj255ELj1ELb1ELb0EN10test_utils16custom_test_typeIhEEfEvPT3_PT4_jj,"axG",@progbits,_Z21sort_key_value_kernelILj255ELj1ELb1ELb0EN10test_utils16custom_test_typeIhEEfEvPT3_PT4_jj,comdat
.Lfunc_end28:
	.size	_Z21sort_key_value_kernelILj255ELj1ELb1ELb0EN10test_utils16custom_test_typeIhEEfEvPT3_PT4_jj, .Lfunc_end28-_Z21sort_key_value_kernelILj255ELj1ELb1ELb0EN10test_utils16custom_test_typeIhEEfEvPT3_PT4_jj
                                        ; -- End function
	.set _Z21sort_key_value_kernelILj255ELj1ELb1ELb0EN10test_utils16custom_test_typeIhEEfEvPT3_PT4_jj.num_vgpr, 32
	.set _Z21sort_key_value_kernelILj255ELj1ELb1ELb0EN10test_utils16custom_test_typeIhEEfEvPT3_PT4_jj.num_agpr, 0
	.set _Z21sort_key_value_kernelILj255ELj1ELb1ELb0EN10test_utils16custom_test_typeIhEEfEvPT3_PT4_jj.numbered_sgpr, 52
	.set _Z21sort_key_value_kernelILj255ELj1ELb1ELb0EN10test_utils16custom_test_typeIhEEfEvPT3_PT4_jj.num_named_barrier, 0
	.set _Z21sort_key_value_kernelILj255ELj1ELb1ELb0EN10test_utils16custom_test_typeIhEEfEvPT3_PT4_jj.private_seg_size, 0
	.set _Z21sort_key_value_kernelILj255ELj1ELb1ELb0EN10test_utils16custom_test_typeIhEEfEvPT3_PT4_jj.uses_vcc, 1
	.set _Z21sort_key_value_kernelILj255ELj1ELb1ELb0EN10test_utils16custom_test_typeIhEEfEvPT3_PT4_jj.uses_flat_scratch, 0
	.set _Z21sort_key_value_kernelILj255ELj1ELb1ELb0EN10test_utils16custom_test_typeIhEEfEvPT3_PT4_jj.has_dyn_sized_stack, 0
	.set _Z21sort_key_value_kernelILj255ELj1ELb1ELb0EN10test_utils16custom_test_typeIhEEfEvPT3_PT4_jj.has_recursion, 0
	.set _Z21sort_key_value_kernelILj255ELj1ELb1ELb0EN10test_utils16custom_test_typeIhEEfEvPT3_PT4_jj.has_indirect_call, 0
	.section	.AMDGPU.csdata,"",@progbits
; Kernel info:
; codeLenInByte = 4668
; TotalNumSgprs: 56
; NumVgprs: 32
; ScratchSize: 0
; MemoryBound: 0
; FloatMode: 240
; IeeeMode: 1
; LDSByteSize: 8176 bytes/workgroup (compile time only)
; SGPRBlocks: 8
; VGPRBlocks: 7
; NumSGPRsForWavesPerEU: 65
; NumVGPRsForWavesPerEU: 32
; Occupancy: 8
; WaveLimiterHint : 0
; COMPUTE_PGM_RSRC2:SCRATCH_EN: 0
; COMPUTE_PGM_RSRC2:USER_SGPR: 6
; COMPUTE_PGM_RSRC2:TRAP_HANDLER: 0
; COMPUTE_PGM_RSRC2:TGID_X_EN: 1
; COMPUTE_PGM_RSRC2:TGID_Y_EN: 0
; COMPUTE_PGM_RSRC2:TGID_Z_EN: 0
; COMPUTE_PGM_RSRC2:TIDIG_COMP_CNT: 0
	.section	.text._Z21sort_key_value_kernelILj129ELj2ELb0ELb1EN10test_utils16custom_test_typeIfEEiEvPT3_PT4_jj,"axG",@progbits,_Z21sort_key_value_kernelILj129ELj2ELb0ELb1EN10test_utils16custom_test_typeIfEEiEvPT3_PT4_jj,comdat
	.protected	_Z21sort_key_value_kernelILj129ELj2ELb0ELb1EN10test_utils16custom_test_typeIfEEiEvPT3_PT4_jj ; -- Begin function _Z21sort_key_value_kernelILj129ELj2ELb0ELb1EN10test_utils16custom_test_typeIfEEiEvPT3_PT4_jj
	.globl	_Z21sort_key_value_kernelILj129ELj2ELb0ELb1EN10test_utils16custom_test_typeIfEEiEvPT3_PT4_jj
	.p2align	8
	.type	_Z21sort_key_value_kernelILj129ELj2ELb0ELb1EN10test_utils16custom_test_typeIfEEiEvPT3_PT4_jj,@function
_Z21sort_key_value_kernelILj129ELj2ELb0ELb1EN10test_utils16custom_test_typeIfEEiEvPT3_PT4_jj: ; @_Z21sort_key_value_kernelILj129ELj2ELb0ELb1EN10test_utils16custom_test_typeIfEEiEvPT3_PT4_jj
; %bb.0:
	s_load_dwordx4 s[0:3], s[4:5], 0x0
	s_load_dwordx2 s[46:47], s[4:5], 0x10
	s_mul_i32 s4, s6, 0x102
	s_mov_b32 s5, 0
	s_lshl_b64 s[6:7], s[4:5], 3
	s_waitcnt lgkmcnt(0)
	s_add_u32 s42, s0, s6
	s_addc_u32 s43, s1, s7
	v_lshlrev_b32_e32 v25, 4, v0
	global_load_dwordx4 v[1:4], v25, s[42:43]
	s_lshl_b64 s[0:1], s[4:5], 2
	s_add_u32 s44, s2, s0
	v_lshlrev_b32_e32 v26, 3, v0
	s_addc_u32 s45, s3, s1
	global_load_dwordx2 v[13:14], v26, s[44:45]
	v_mbcnt_lo_u32_b32 v6, -1, 0
	s_cmp_eq_u32 s46, 0
	v_mbcnt_hi_u32_b32 v6, -1, v6
	s_cselect_b64 s[24:25], -1, 0
	s_cmp_eq_u32 s47, 64
	v_subrev_co_u32_e64 v11, s[6:7], 1, v6
	v_and_b32_e32 v12, 64, v6
	s_cselect_b64 s[26:27], -1, 0
	v_and_b32_e32 v7, 0xc0, v0
	v_lshrrev_b32_e32 v8, 4, v0
	v_cmp_lt_i32_e32 vcc, v11, v12
	s_and_b64 s[24:25], s[24:25], s[26:27]
	v_bfrev_b32_e32 v5, -2
	v_and_b32_e32 v9, 15, v6
	v_and_b32_e32 v10, 16, v6
	v_cmp_lt_u32_e64 s[4:5], 31, v6
	v_min_u32_e32 v7, 0x41, v7
	v_and_b32_e32 v21, 12, v8
	v_and_b32_e32 v8, 3, v6
	v_cndmask_b32_e32 v6, v11, v6, vcc
	s_and_b64 vcc, exec, s[24:25]
	v_add_u32_e32 v7, 63, v7
	v_lshlrev_b32_e32 v24, 2, v6
	s_movk_i32 s8, 0xffe4
	v_lshlrev_b32_e32 v19, 5, v0
	v_cmp_eq_u32_e64 s[22:23], v0, v7
	v_mad_i32_i24 v22, v0, s8, v19
	v_cmp_eq_u32_e64 s[18:19], 0, v8
	v_cmp_lt_u32_e64 s[20:21], 1, v8
	v_mad_u32_u24 v23, v0, 12, v22
	s_movk_i32 s33, 0x102
	v_mov_b32_e32 v27, 0
	v_cmp_gt_u32_e64 s[0:1], 3, v0
	v_cmp_lt_u32_e64 s[2:3], 63, v0
	v_lshlrev_b32_e32 v28, 2, v0
	v_cmp_eq_u32_e64 s[8:9], 0, v9
	v_cmp_lt_u32_e64 s[10:11], 1, v9
	v_cmp_lt_u32_e64 s[12:13], 3, v9
	;; [unrolled: 1-line block ×3, first 2 shown]
	v_cmp_eq_u32_e64 s[16:17], 0, v10
	v_sub_u32_e32 v20, v23, v26
	v_mov_b32_e32 v30, s43
	v_mov_b32_e32 v29, s45
	s_waitcnt vmcnt(1)
	v_cmp_gt_i32_e64 s[24:25], 0, v1
	v_cndmask_b32_e64 v6, v5, 0, s[24:25]
	v_cmp_gt_i32_e64 s[24:25], 0, v2
	v_cndmask_b32_e64 v7, v5, 0, s[24:25]
	;; [unrolled: 2-line block ×4, first 2 shown]
	v_xor_b32_e32 v1, v6, v1
	v_xor_b32_e32 v2, v7, v2
	;; [unrolled: 1-line block ×4, first 2 shown]
	s_cbranch_vccnz .LBB29_19
; %bb.1:
	s_movk_i32 s24, 0x387
	s_movk_i32 s26, 0x306
	;; [unrolled: 1-line block ×5, first 2 shown]
	v_cmp_gt_u32_e64 s[36:37], s33, v0
	s_movk_i32 s33, 0x81
	v_cmp_gt_u32_e64 s[24:25], s24, v0
	v_cmp_gt_u32_e64 s[26:27], s26, v0
	;; [unrolled: 1-line block ×6, first 2 shown]
	s_sub_i32 s45, 0, s46
	s_sub_i32 s43, s47, s46
	v_mov_b32_e32 v8, v4
	v_mov_b32_e32 v7, v3
	;; [unrolled: 1-line block ×4, first 2 shown]
	s_waitcnt vmcnt(0)
	v_mov_b32_e32 v9, v13
	v_mov_b32_e32 v10, v14
	s_branch .LBB29_3
.LBB29_2:                               ;   in Loop: Header=BB29_3 Depth=1
	s_andn2_b64 vcc, exec, s[40:41]
	s_mov_b32 s43, s49
	s_mov_b32 s45, s48
	s_cbranch_vccz .LBB29_20
.LBB29_3:                               ; =>This Inner Loop Header: Depth=1
	v_mov_b32_e32 v31, v10
	v_mov_b32_e32 v32, v9
	;; [unrolled: 1-line block ×6, first 2 shown]
	ds_write_b32 v28, v27
	s_and_saveexec_b64 s[40:41], s[24:25]
	s_cbranch_execz .LBB29_11
; %bb.4:                                ;   in Loop: Header=BB29_3 Depth=1
	ds_write_b32 v28, v27 offset:516
	s_and_b64 exec, exec, s[26:27]
	s_cbranch_execz .LBB29_11
; %bb.5:                                ;   in Loop: Header=BB29_3 Depth=1
	ds_write_b32 v28, v27 offset:1032
	s_and_b64 exec, exec, s[28:29]
	;; [unrolled: 4-line block ×6, first 2 shown]
; %bb.10:                               ;   in Loop: Header=BB29_3 Depth=1
	ds_write_b32 v28, v27 offset:3612
.LBB29_11:                              ;   in Loop: Header=BB29_3 Depth=1
	s_or_b64 exec, exec, s[40:41]
	s_max_i32 s50, s46, 0
	s_add_i32 s40, s50, s45
	s_max_i32 s51, s45, 0
	s_sub_i32 s52, s40, s51
	s_min_u32 s40, s43, 4
	s_add_i32 s41, s47, s45
	s_min_u32 s53, s41, 4
	s_add_i32 s54, s40, s46
	s_cmp_lt_i32 s46, 32
	s_cselect_b64 s[40:41], -1, 0
	s_cmp_gt_i32 s54, 0
	s_cselect_b64 s[48:49], -1, 0
	s_and_b64 vcc, s[40:41], s[48:49]
	s_cmp_lt_i32 s46, 64
	s_cselect_b64 s[40:41], -1, 0
	s_cmp_gt_i32 s54, 32
	s_cselect_b64 s[48:49], -1, 0
	s_add_i32 s52, s52, s54
	s_and_b64 s[40:41], s[40:41], s[48:49]
	s_min_i32 s48, s52, 32
	s_sub_i32 s48, s48, s50
	s_lshl_b32 s49, -1, s48
	s_not_b32 s49, s49
	s_cmp_lg_u32 s48, 32
	s_cselect_b32 s48, s49, -1
	s_max_i32 s52, s46, 32
	s_add_i32 s49, s45, 32
	s_sub_i32 s52, s52, 32
	s_max_i32 s49, s49, 0
	s_add_i32 s53, s52, s53
	s_sub_i32 s53, s53, s49
	s_min_i32 s53, s53, 32
	s_sub_i32 s53, s53, s52
	s_lshl_b32 s54, -1, s53
	s_not_b32 s54, s54
	s_cmp_lg_u32 s53, 32
	s_cselect_b32 s53, s54, -1
	v_lshrrev_b32_e32 v5, s50, v18
	v_lshrrev_b32_e32 v6, s52, v17
	v_and_b32_e32 v5, s48, v5
	v_and_b32_e32 v6, s53, v6
	v_lshlrev_b32_e32 v5, s51, v5
	v_lshlrev_b32_e32 v6, s49, v6
	v_cndmask_b32_e32 v5, 0, v5, vcc
	v_cndmask_b32_e64 v6, 0, v6, s[40:41]
	v_or_b32_e32 v5, v5, v6
	v_and_b32_e32 v6, 7, v5
	v_lshrrev_b32_e32 v5, 2, v5
	v_mad_u32_u24 v6, v6, s33, v0
	v_and_b32_e32 v5, 0x3ffffffe, v5
	v_lshl_add_u32 v34, v6, 2, v5
	ds_read_u16 v33, v34
	v_lshrrev_b32_e32 v6, s52, v15
	v_and_b32_e32 v6, s53, v6
	v_lshlrev_b32_e32 v6, s49, v6
	v_cndmask_b32_e64 v6, 0, v6, s[40:41]
	s_waitcnt lgkmcnt(0)
	v_add_u16_e32 v5, 1, v33
	ds_write_b16 v34, v5
	v_lshrrev_b32_e32 v5, s50, v16
	v_and_b32_e32 v5, s48, v5
	v_lshlrev_b32_e32 v5, s51, v5
	v_cndmask_b32_e32 v5, 0, v5, vcc
	v_or_b32_e32 v5, v5, v6
	v_and_b32_e32 v6, 7, v5
	v_lshrrev_b32_e32 v5, 2, v5
	v_mad_u32_u24 v6, v6, s33, v0
	v_and_b32_e32 v5, 0x3ffffffe, v5
	v_lshl_add_u32 v36, v6, 2, v5
	ds_read_u16 v35, v36
	s_waitcnt lgkmcnt(0)
	v_add_u16_e32 v5, 1, v35
	ds_write_b16 v36, v5
	s_waitcnt lgkmcnt(0)
	s_barrier
	ds_read2_b64 v[9:12], v19 offset1:1
	ds_read2_b64 v[5:8], v19 offset0:2 offset1:3
	s_waitcnt lgkmcnt(1)
	v_add_u32_e32 v37, v10, v9
	v_add3_u32 v37, v37, v11, v12
	s_waitcnt lgkmcnt(0)
	v_add3_u32 v37, v37, v5, v6
	v_add3_u32 v8, v37, v7, v8
	s_nop 1
	v_mov_b32_dpp v37, v8 row_shr:1 row_mask:0xf bank_mask:0xf
	v_cndmask_b32_e64 v37, v37, 0, s[8:9]
	v_add_u32_e32 v8, v37, v8
	s_nop 1
	v_mov_b32_dpp v37, v8 row_shr:2 row_mask:0xf bank_mask:0xf
	v_cndmask_b32_e64 v37, 0, v37, s[10:11]
	v_add_u32_e32 v8, v8, v37
	;; [unrolled: 4-line block ×4, first 2 shown]
	s_nop 1
	v_mov_b32_dpp v37, v8 row_bcast:15 row_mask:0xf bank_mask:0xf
	v_cndmask_b32_e64 v37, v37, 0, s[16:17]
	v_add_u32_e32 v8, v8, v37
	s_nop 1
	v_mov_b32_dpp v37, v8 row_bcast:31 row_mask:0xf bank_mask:0xf
	v_cndmask_b32_e64 v37, 0, v37, s[4:5]
	v_add_u32_e32 v8, v8, v37
	s_and_saveexec_b64 s[40:41], s[22:23]
; %bb.12:                               ;   in Loop: Header=BB29_3 Depth=1
	ds_write_b32 v21, v8 offset:4128
; %bb.13:                               ;   in Loop: Header=BB29_3 Depth=1
	s_or_b64 exec, exec, s[40:41]
	s_waitcnt lgkmcnt(0)
	s_barrier
	s_and_saveexec_b64 s[40:41], s[0:1]
	s_cbranch_execz .LBB29_15
; %bb.14:                               ;   in Loop: Header=BB29_3 Depth=1
	ds_read_b32 v37, v22 offset:4128
	s_waitcnt lgkmcnt(0)
	s_nop 0
	v_mov_b32_dpp v38, v37 row_shr:1 row_mask:0xf bank_mask:0xf
	v_cndmask_b32_e64 v38, v38, 0, s[18:19]
	v_add_u32_e32 v37, v38, v37
	s_nop 1
	v_mov_b32_dpp v38, v37 row_shr:2 row_mask:0xf bank_mask:0xf
	v_cndmask_b32_e64 v38, 0, v38, s[20:21]
	v_add_u32_e32 v37, v37, v38
	ds_write_b32 v22, v37 offset:4128
.LBB29_15:                              ;   in Loop: Header=BB29_3 Depth=1
	s_or_b64 exec, exec, s[40:41]
	v_mov_b32_e32 v37, 0
	s_waitcnt lgkmcnt(0)
	s_barrier
	s_and_saveexec_b64 s[40:41], s[2:3]
; %bb.16:                               ;   in Loop: Header=BB29_3 Depth=1
	ds_read_b32 v37, v21 offset:4124
; %bb.17:                               ;   in Loop: Header=BB29_3 Depth=1
	s_or_b64 exec, exec, s[40:41]
	s_waitcnt lgkmcnt(0)
	v_add_u32_e32 v8, v37, v8
	ds_bpermute_b32 v8, v24, v8
	ds_read_b32 v38, v27 offset:4136
	s_add_i32 s46, s46, 4
	s_cmp_ge_u32 s46, s47
	s_mov_b64 s[40:41], -1
	s_waitcnt lgkmcnt(1)
	v_cndmask_b32_e64 v8, v8, v37, s[6:7]
	s_waitcnt lgkmcnt(0)
	v_lshl_add_u32 v8, v38, 16, v8
	v_add_u32_e32 v9, v8, v9
	v_add_u32_e32 v10, v9, v10
	;; [unrolled: 1-line block ×7, first 2 shown]
	ds_write2_b64 v19, v[8:9], v[10:11] offset1:1
	ds_write2_b64 v19, v[37:38], v[5:6] offset0:2 offset1:3
	s_waitcnt lgkmcnt(0)
	s_barrier
	ds_read_u16 v5, v34
	ds_read_u16 v6, v36
	v_readfirstlane_b32 s48, v0
	v_readfirstlane_b32 s49, v0
	s_waitcnt lgkmcnt(0)
	v_add_u32_sdwa v5, v5, v33 dst_sel:DWORD dst_unused:UNUSED_PAD src0_sel:DWORD src1_sel:WORD_0
	v_add_u32_sdwa v6, v6, v35 dst_sel:DWORD dst_unused:UNUSED_PAD src0_sel:DWORD src1_sel:WORD_0
	v_lshlrev_b32_e32 v12, 3, v5
	v_lshlrev_b32_e32 v5, 2, v5
	v_sub_u32_e32 v33, 0, v5
	v_lshlrev_b32_e32 v5, 2, v6
	v_lshlrev_b32_e32 v11, 3, v6
	v_sub_u32_e32 v34, 0, v5
                                        ; implicit-def: $vgpr10
                                        ; implicit-def: $vgpr5
	s_cbranch_scc1 .LBB29_2
; %bb.18:                               ;   in Loop: Header=BB29_3 Depth=1
	v_add_u32_e32 v9, v12, v33
	s_barrier
	ds_write_b64 v12, v[17:18]
	ds_write_b64 v11, v[15:16]
	s_waitcnt lgkmcnt(0)
	s_barrier
	ds_read2_b64 v[5:8], v23 offset1:1
	s_waitcnt lgkmcnt(0)
	s_barrier
	ds_write_b32 v9, v32
	v_add_u32_e32 v9, v11, v34
	ds_write_b32 v9, v31
	s_waitcnt lgkmcnt(0)
	s_barrier
	ds_read_b64 v[9:10], v20
	s_add_i32 s48, s45, -4
	s_add_i32 s49, s43, -4
	s_mov_b64 s[40:41], 0
	s_waitcnt lgkmcnt(0)
	s_barrier
	s_branch .LBB29_2
.LBB29_19:
	s_mov_b64 s[24:25], -1
                                        ; implicit-def: $vgpr5
	s_branch .LBB29_21
.LBB29_20:
	s_barrier
	ds_write_b64 v12, v[17:18]
	ds_write_b64 v11, v[15:16]
	s_waitcnt lgkmcnt(0)
	s_barrier
	ds_read2_b64 v[5:8], v23 offset1:1
	v_add_u32_e32 v9, v12, v33
	s_waitcnt lgkmcnt(0)
	s_barrier
	ds_write_b32 v9, v32
	v_add_u32_e32 v9, v11, v34
	ds_write_b32 v9, v31
	s_waitcnt lgkmcnt(0)
	s_barrier
	s_mov_b64 s[24:25], 0
.LBB29_21:
	v_add_co_u32_e32 v9, vcc, s42, v25
	v_addc_co_u32_e32 v10, vcc, 0, v30, vcc
	v_add_co_u32_e32 v11, vcc, s44, v26
	v_addc_co_u32_e32 v12, vcc, 0, v29, vcc
	s_and_b64 vcc, exec, s[24:25]
	s_cbranch_vccz .LBB29_41
; %bb.22:
	s_movk_i32 s33, 0x183
	v_cmp_gt_u32_e64 s[34:35], s33, v0
	s_movk_i32 s33, 0x102
	v_sub_u32_e32 v5, 0, v28
	s_movk_i32 s24, 0x387
	s_movk_i32 s26, 0x306
	;; [unrolled: 1-line block ×4, first 2 shown]
	v_cmp_gt_u32_e64 s[36:37], s33, v0
	s_movk_i32 s33, 0x81
	s_mov_b32 s42, 0
	v_cmp_gt_u32_e64 s[24:25], s24, v0
	v_cmp_gt_u32_e64 s[26:27], s26, v0
	;; [unrolled: 1-line block ×5, first 2 shown]
	s_mov_b32 s44, 32
	s_mov_b32 s43, 4
	v_add_u32_e32 v27, v20, v5
	v_mov_b32_e32 v28, 0
	s_branch .LBB29_24
.LBB29_23:                              ;   in Loop: Header=BB29_24 Depth=1
	s_andn2_b64 vcc, exec, s[40:41]
	s_mov_b32 s43, s47
	s_mov_b32 s44, s46
	;; [unrolled: 1-line block ×3, first 2 shown]
	s_cbranch_vccz .LBB29_40
.LBB29_24:                              ; =>This Inner Loop Header: Depth=1
	s_waitcnt vmcnt(0)
	v_mov_b32_e32 v25, v14
	v_mov_b32_e32 v26, v13
	;; [unrolled: 1-line block ×6, first 2 shown]
	ds_write_b32 v27, v28
	s_and_saveexec_b64 s[40:41], s[24:25]
	s_cbranch_execz .LBB29_32
; %bb.25:                               ;   in Loop: Header=BB29_24 Depth=1
	ds_write_b32 v27, v28 offset:516
	s_and_b64 exec, exec, s[26:27]
	s_cbranch_execz .LBB29_32
; %bb.26:                               ;   in Loop: Header=BB29_24 Depth=1
	ds_write_b32 v27, v28 offset:1032
	s_and_b64 exec, exec, s[28:29]
	;; [unrolled: 4-line block ×6, first 2 shown]
; %bb.31:                               ;   in Loop: Header=BB29_24 Depth=1
	ds_write_b32 v27, v28 offset:3612
.LBB29_32:                              ;   in Loop: Header=BB29_24 Depth=1
	s_or_b64 exec, exec, s[40:41]
	s_min_i32 s45, s43, 32
	s_cmp_lt_u32 s42, 32
	s_cselect_b64 vcc, -1, 0
	s_cmp_gt_u32 s42, 31
	s_cselect_b64 s[40:41], -1, 0
	s_sub_i32 s45, s45, 32
	s_add_i32 s46, s45, s44
	s_lshl_b32 s46, -1, s46
	s_not_b32 s46, s46
	s_cmp_lg_u32 s45, s42
	s_cselect_b32 s45, s46, -1
	s_max_i32 s46, s44, 0
	s_max_i32 s47, s42, 32
	s_sub_i32 s48, s47, 32
	s_sub_i32 s47, s47, s46
	;; [unrolled: 1-line block ×3, first 2 shown]
	s_min_i32 s47, s47, 32
	s_sub_i32 s47, s47, s48
	s_lshl_b32 s49, -1, s47
	s_not_b32 s49, s49
	s_cmp_lg_u32 s47, 32
	s_cselect_b32 s47, s49, -1
	v_lshrrev_b32_e32 v2, s48, v17
	v_lshrrev_b32_e32 v1, s42, v18
	v_and_b32_e32 v2, s47, v2
	v_and_b32_e32 v1, s45, v1
	v_lshlrev_b32_e32 v2, s46, v2
	v_cndmask_b32_e32 v1, 0, v1, vcc
	v_cndmask_b32_e64 v2, 0, v2, s[40:41]
	v_or_b32_e32 v1, v1, v2
	v_and_b32_e32 v2, 7, v1
	v_lshrrev_b32_e32 v1, 2, v1
	v_mad_u32_u24 v2, v2, s33, v0
	v_and_b32_e32 v1, 0x3ffffffe, v1
	v_lshl_add_u32 v14, v2, 2, v1
	ds_read_u16 v13, v14
	v_lshrrev_b32_e32 v2, s48, v15
	v_and_b32_e32 v2, s47, v2
	v_lshlrev_b32_e32 v2, s46, v2
	v_cndmask_b32_e64 v2, 0, v2, s[40:41]
	s_waitcnt lgkmcnt(0)
	v_add_u16_e32 v1, 1, v13
	ds_write_b16 v14, v1
	v_lshrrev_b32_e32 v1, s42, v16
	v_and_b32_e32 v1, s45, v1
	v_cndmask_b32_e32 v1, 0, v1, vcc
	v_or_b32_e32 v1, v1, v2
	v_and_b32_e32 v2, 7, v1
	v_lshrrev_b32_e32 v1, 2, v1
	v_mad_u32_u24 v2, v2, s33, v0
	v_and_b32_e32 v1, 0x3ffffffe, v1
	v_lshl_add_u32 v30, v2, 2, v1
	ds_read_u16 v29, v30
	s_waitcnt lgkmcnt(0)
	v_add_u16_e32 v1, 1, v29
	ds_write_b16 v30, v1
	s_waitcnt lgkmcnt(0)
	s_barrier
	ds_read2_b64 v[5:8], v19 offset1:1
	ds_read2_b64 v[1:4], v19 offset0:2 offset1:3
	s_waitcnt lgkmcnt(1)
	v_add_u32_e32 v31, v6, v5
	v_add3_u32 v31, v31, v7, v8
	s_waitcnt lgkmcnt(0)
	v_add3_u32 v31, v31, v1, v2
	v_add3_u32 v4, v31, v3, v4
	s_nop 1
	v_mov_b32_dpp v31, v4 row_shr:1 row_mask:0xf bank_mask:0xf
	v_cndmask_b32_e64 v31, v31, 0, s[8:9]
	v_add_u32_e32 v4, v31, v4
	s_nop 1
	v_mov_b32_dpp v31, v4 row_shr:2 row_mask:0xf bank_mask:0xf
	v_cndmask_b32_e64 v31, 0, v31, s[10:11]
	v_add_u32_e32 v4, v4, v31
	;; [unrolled: 4-line block ×4, first 2 shown]
	s_nop 1
	v_mov_b32_dpp v31, v4 row_bcast:15 row_mask:0xf bank_mask:0xf
	v_cndmask_b32_e64 v31, v31, 0, s[16:17]
	v_add_u32_e32 v4, v4, v31
	s_nop 1
	v_mov_b32_dpp v31, v4 row_bcast:31 row_mask:0xf bank_mask:0xf
	v_cndmask_b32_e64 v31, 0, v31, s[4:5]
	v_add_u32_e32 v4, v4, v31
	s_and_saveexec_b64 s[40:41], s[22:23]
; %bb.33:                               ;   in Loop: Header=BB29_24 Depth=1
	ds_write_b32 v21, v4 offset:4128
; %bb.34:                               ;   in Loop: Header=BB29_24 Depth=1
	s_or_b64 exec, exec, s[40:41]
	s_waitcnt lgkmcnt(0)
	s_barrier
	s_and_saveexec_b64 s[40:41], s[0:1]
	s_cbranch_execz .LBB29_36
; %bb.35:                               ;   in Loop: Header=BB29_24 Depth=1
	ds_read_b32 v31, v22 offset:4128
	s_waitcnt lgkmcnt(0)
	s_nop 0
	v_mov_b32_dpp v32, v31 row_shr:1 row_mask:0xf bank_mask:0xf
	v_cndmask_b32_e64 v32, v32, 0, s[18:19]
	v_add_u32_e32 v31, v32, v31
	s_nop 1
	v_mov_b32_dpp v32, v31 row_shr:2 row_mask:0xf bank_mask:0xf
	v_cndmask_b32_e64 v32, 0, v32, s[20:21]
	v_add_u32_e32 v31, v31, v32
	ds_write_b32 v22, v31 offset:4128
.LBB29_36:                              ;   in Loop: Header=BB29_24 Depth=1
	s_or_b64 exec, exec, s[40:41]
	v_mov_b32_e32 v31, 0
	s_waitcnt lgkmcnt(0)
	s_barrier
	s_and_saveexec_b64 s[40:41], s[2:3]
; %bb.37:                               ;   in Loop: Header=BB29_24 Depth=1
	ds_read_b32 v31, v21 offset:4124
; %bb.38:                               ;   in Loop: Header=BB29_24 Depth=1
	s_or_b64 exec, exec, s[40:41]
	s_waitcnt lgkmcnt(0)
	v_add_u32_e32 v4, v31, v4
	ds_bpermute_b32 v4, v24, v4
	ds_read_b32 v32, v28 offset:4136
	s_cmp_gt_u32 s42, 59
	s_mov_b64 s[40:41], -1
	v_readfirstlane_b32 s45, v0
	s_waitcnt lgkmcnt(1)
	v_cndmask_b32_e64 v4, v4, v31, s[6:7]
	s_waitcnt lgkmcnt(0)
	v_lshl_add_u32 v4, v32, 16, v4
	v_add_u32_e32 v5, v4, v5
	v_add_u32_e32 v6, v5, v6
	;; [unrolled: 1-line block ×7, first 2 shown]
	ds_write2_b64 v19, v[4:5], v[6:7] offset1:1
	ds_write2_b64 v19, v[31:32], v[1:2] offset0:2 offset1:3
	s_waitcnt lgkmcnt(0)
	s_barrier
	ds_read_u16 v1, v14
	ds_read_u16 v2, v30
	v_readfirstlane_b32 s46, v0
	v_readfirstlane_b32 s47, v0
	s_waitcnt lgkmcnt(0)
	v_add_u32_sdwa v1, v1, v13 dst_sel:DWORD dst_unused:UNUSED_PAD src0_sel:DWORD src1_sel:WORD_0
	v_add_u32_sdwa v2, v2, v29 dst_sel:DWORD dst_unused:UNUSED_PAD src0_sel:DWORD src1_sel:WORD_0
	v_lshlrev_b32_e32 v30, 3, v1
	v_lshlrev_b32_e32 v1, 2, v1
	v_sub_u32_e32 v31, 0, v1
	v_lshlrev_b32_e32 v1, 2, v2
	v_lshlrev_b32_e32 v29, 3, v2
	v_sub_u32_e32 v32, 0, v1
                                        ; implicit-def: $vgpr14
                                        ; implicit-def: $vgpr1
	s_cbranch_scc1 .LBB29_23
; %bb.39:                               ;   in Loop: Header=BB29_24 Depth=1
	v_add_u32_e32 v5, v30, v31
	s_barrier
	ds_write_b64 v30, v[17:18]
	ds_write_b64 v29, v[15:16]
	s_waitcnt lgkmcnt(0)
	s_barrier
	ds_read2_b64 v[1:4], v23 offset1:1
	s_waitcnt lgkmcnt(0)
	s_barrier
	ds_write_b32 v5, v26
	v_add_u32_e32 v5, v29, v32
	ds_write_b32 v5, v25
	s_waitcnt lgkmcnt(0)
	s_barrier
	ds_read_b64 v[13:14], v20
	s_add_i32 s46, s44, -4
	s_add_i32 s47, s43, 4
	s_add_i32 s45, s42, 4
	s_mov_b64 s[40:41], 0
	s_waitcnt lgkmcnt(0)
	s_barrier
	s_branch .LBB29_23
.LBB29_40:
	s_barrier
	ds_write_b64 v30, v[17:18]
	ds_write_b64 v29, v[15:16]
	s_waitcnt lgkmcnt(0)
	s_barrier
	ds_read2_b64 v[5:8], v23 offset1:1
	v_add_u32_e32 v0, v30, v31
	s_waitcnt lgkmcnt(0)
	s_barrier
	ds_write_b32 v0, v26
	v_add_u32_e32 v0, v29, v32
	ds_write_b32 v0, v25
	s_waitcnt lgkmcnt(0)
	s_barrier
.LBB29_41:
	v_bfrev_b32_e32 v3, -2
	v_cmp_gt_i32_e32 vcc, 0, v5
	v_cndmask_b32_e64 v0, v3, 0, vcc
	v_cmp_gt_i32_e32 vcc, 0, v6
	s_waitcnt vmcnt(0)
	ds_read_b64 v[13:14], v20
	v_cndmask_b32_e64 v1, v3, 0, vcc
	v_cmp_gt_i32_e32 vcc, 0, v7
	v_cndmask_b32_e64 v2, v3, 0, vcc
	v_cmp_gt_i32_e32 vcc, 0, v8
	v_cndmask_b32_e64 v3, v3, 0, vcc
	v_xor_b32_e32 v0, v0, v5
	v_xor_b32_e32 v1, v1, v6
	;; [unrolled: 1-line block ×4, first 2 shown]
	global_store_dwordx4 v[9:10], v[0:3], off
	s_waitcnt lgkmcnt(0)
	global_store_dwordx2 v[11:12], v[13:14], off
	s_endpgm
	.section	.rodata,"a",@progbits
	.p2align	6, 0x0
	.amdhsa_kernel _Z21sort_key_value_kernelILj129ELj2ELb0ELb1EN10test_utils16custom_test_typeIfEEiEvPT3_PT4_jj
		.amdhsa_group_segment_fixed_size 4144
		.amdhsa_private_segment_fixed_size 0
		.amdhsa_kernarg_size 24
		.amdhsa_user_sgpr_count 6
		.amdhsa_user_sgpr_private_segment_buffer 1
		.amdhsa_user_sgpr_dispatch_ptr 0
		.amdhsa_user_sgpr_queue_ptr 0
		.amdhsa_user_sgpr_kernarg_segment_ptr 1
		.amdhsa_user_sgpr_dispatch_id 0
		.amdhsa_user_sgpr_flat_scratch_init 0
		.amdhsa_user_sgpr_private_segment_size 0
		.amdhsa_uses_dynamic_stack 0
		.amdhsa_system_sgpr_private_segment_wavefront_offset 0
		.amdhsa_system_sgpr_workgroup_id_x 1
		.amdhsa_system_sgpr_workgroup_id_y 0
		.amdhsa_system_sgpr_workgroup_id_z 0
		.amdhsa_system_sgpr_workgroup_info 0
		.amdhsa_system_vgpr_workitem_id 0
		.amdhsa_next_free_vgpr 39
		.amdhsa_next_free_sgpr 55
		.amdhsa_reserve_vcc 1
		.amdhsa_reserve_flat_scratch 0
		.amdhsa_float_round_mode_32 0
		.amdhsa_float_round_mode_16_64 0
		.amdhsa_float_denorm_mode_32 3
		.amdhsa_float_denorm_mode_16_64 3
		.amdhsa_dx10_clamp 1
		.amdhsa_ieee_mode 1
		.amdhsa_fp16_overflow 0
		.amdhsa_exception_fp_ieee_invalid_op 0
		.amdhsa_exception_fp_denorm_src 0
		.amdhsa_exception_fp_ieee_div_zero 0
		.amdhsa_exception_fp_ieee_overflow 0
		.amdhsa_exception_fp_ieee_underflow 0
		.amdhsa_exception_fp_ieee_inexact 0
		.amdhsa_exception_int_div_zero 0
	.end_amdhsa_kernel
	.section	.text._Z21sort_key_value_kernelILj129ELj2ELb0ELb1EN10test_utils16custom_test_typeIfEEiEvPT3_PT4_jj,"axG",@progbits,_Z21sort_key_value_kernelILj129ELj2ELb0ELb1EN10test_utils16custom_test_typeIfEEiEvPT3_PT4_jj,comdat
.Lfunc_end29:
	.size	_Z21sort_key_value_kernelILj129ELj2ELb0ELb1EN10test_utils16custom_test_typeIfEEiEvPT3_PT4_jj, .Lfunc_end29-_Z21sort_key_value_kernelILj129ELj2ELb0ELb1EN10test_utils16custom_test_typeIfEEiEvPT3_PT4_jj
                                        ; -- End function
	.set _Z21sort_key_value_kernelILj129ELj2ELb0ELb1EN10test_utils16custom_test_typeIfEEiEvPT3_PT4_jj.num_vgpr, 39
	.set _Z21sort_key_value_kernelILj129ELj2ELb0ELb1EN10test_utils16custom_test_typeIfEEiEvPT3_PT4_jj.num_agpr, 0
	.set _Z21sort_key_value_kernelILj129ELj2ELb0ELb1EN10test_utils16custom_test_typeIfEEiEvPT3_PT4_jj.numbered_sgpr, 55
	.set _Z21sort_key_value_kernelILj129ELj2ELb0ELb1EN10test_utils16custom_test_typeIfEEiEvPT3_PT4_jj.num_named_barrier, 0
	.set _Z21sort_key_value_kernelILj129ELj2ELb0ELb1EN10test_utils16custom_test_typeIfEEiEvPT3_PT4_jj.private_seg_size, 0
	.set _Z21sort_key_value_kernelILj129ELj2ELb0ELb1EN10test_utils16custom_test_typeIfEEiEvPT3_PT4_jj.uses_vcc, 1
	.set _Z21sort_key_value_kernelILj129ELj2ELb0ELb1EN10test_utils16custom_test_typeIfEEiEvPT3_PT4_jj.uses_flat_scratch, 0
	.set _Z21sort_key_value_kernelILj129ELj2ELb0ELb1EN10test_utils16custom_test_typeIfEEiEvPT3_PT4_jj.has_dyn_sized_stack, 0
	.set _Z21sort_key_value_kernelILj129ELj2ELb0ELb1EN10test_utils16custom_test_typeIfEEiEvPT3_PT4_jj.has_recursion, 0
	.set _Z21sort_key_value_kernelILj129ELj2ELb0ELb1EN10test_utils16custom_test_typeIfEEiEvPT3_PT4_jj.has_indirect_call, 0
	.section	.AMDGPU.csdata,"",@progbits
; Kernel info:
; codeLenInByte = 3136
; TotalNumSgprs: 59
; NumVgprs: 39
; ScratchSize: 0
; MemoryBound: 0
; FloatMode: 240
; IeeeMode: 1
; LDSByteSize: 4144 bytes/workgroup (compile time only)
; SGPRBlocks: 7
; VGPRBlocks: 9
; NumSGPRsForWavesPerEU: 59
; NumVGPRsForWavesPerEU: 39
; Occupancy: 6
; WaveLimiterHint : 0
; COMPUTE_PGM_RSRC2:SCRATCH_EN: 0
; COMPUTE_PGM_RSRC2:USER_SGPR: 6
; COMPUTE_PGM_RSRC2:TRAP_HANDLER: 0
; COMPUTE_PGM_RSRC2:TGID_X_EN: 1
; COMPUTE_PGM_RSRC2:TGID_Y_EN: 0
; COMPUTE_PGM_RSRC2:TGID_Z_EN: 0
; COMPUTE_PGM_RSRC2:TIDIG_COMP_CNT: 0
	.section	.text._Z21sort_key_value_kernelILj128ELj4ELb0ELb0EN10test_utils16custom_test_typeIsEEiEvPT3_PT4_jj,"axG",@progbits,_Z21sort_key_value_kernelILj128ELj4ELb0ELb0EN10test_utils16custom_test_typeIsEEiEvPT3_PT4_jj,comdat
	.protected	_Z21sort_key_value_kernelILj128ELj4ELb0ELb0EN10test_utils16custom_test_typeIsEEiEvPT3_PT4_jj ; -- Begin function _Z21sort_key_value_kernelILj128ELj4ELb0ELb0EN10test_utils16custom_test_typeIsEEiEvPT3_PT4_jj
	.globl	_Z21sort_key_value_kernelILj128ELj4ELb0ELb0EN10test_utils16custom_test_typeIsEEiEvPT3_PT4_jj
	.p2align	8
	.type	_Z21sort_key_value_kernelILj128ELj4ELb0ELb0EN10test_utils16custom_test_typeIsEEiEvPT3_PT4_jj,@function
_Z21sort_key_value_kernelILj128ELj4ELb0ELb0EN10test_utils16custom_test_typeIsEEiEvPT3_PT4_jj: ; @_Z21sort_key_value_kernelILj128ELj4ELb0ELb0EN10test_utils16custom_test_typeIsEEiEvPT3_PT4_jj
; %bb.0:
	s_load_dwordx4 s[0:3], s[4:5], 0x0
	s_load_dwordx2 s[46:47], s[4:5], 0x10
	s_mov_b32 s48, 0
	s_lshl_b32 s6, s6, 9
	s_mov_b32 s7, s48
	s_lshl_b64 s[6:7], s[6:7], 2
	s_waitcnt lgkmcnt(0)
	s_add_u32 s42, s0, s6
	s_addc_u32 s43, s1, s7
	v_lshlrev_b32_e32 v16, 4, v0
	global_load_dwordx4 v[7:10], v16, s[42:43]
	s_add_u32 s44, s2, s6
	s_addc_u32 s45, s3, s7
	global_load_dwordx4 v[3:6], v16, s[44:45]
	v_mbcnt_lo_u32_b32 v12, -1, 0
	v_mbcnt_hi_u32_b32 v21, -1, v12
	s_cmp_lg_u32 s46, 0
	v_lshrrev_b32_e32 v12, 2, v21
	v_and_b32_e32 v22, 64, v21
	v_and_b32_e32 v13, 3, v21
	s_cselect_b64 s[18:19], -1, 0
	s_cmp_lg_u32 s47, 32
	s_movk_i32 s22, 0x8000
	v_cmp_eq_u32_e64 s[8:9], 0, v13
	v_cmp_eq_u32_e64 s[6:7], 1, v13
	v_cmp_eq_u32_e64 s[0:1], 2, v13
	v_cmp_eq_u32_e64 s[2:3], 3, v13
	v_or_b32_e32 v13, v12, v22
	s_cselect_b64 s[20:21], -1, 0
	v_lshlrev_b32_e32 v20, 2, v0
	v_add_u32_e32 v35, 48, v12
	v_lshlrev_b32_e32 v34, 2, v13
	s_or_b64 s[18:19], s[18:19], s[20:21]
	v_mov_b32_e32 v11, 0
	v_cmp_gt_u32_e64 s[10:11], 2, v0
	v_cmp_lt_u32_e64 s[12:13], 63, v0
	v_cmp_eq_u32_e64 s[14:15], 0, v0
	v_lshrrev_b32_e32 v26, 4, v0
	v_mul_i32_i24_e32 v23, -12, v0
	v_lshlrev_b32_e32 v19, 2, v20
	v_and_b32_e32 v25, 15, v21
	v_and_b32_e32 v27, 16, v21
	v_cmp_lt_u32_e64 s[16:17], 31, v21
	v_and_b32_e32 v24, 1, v21
	v_add_u32_e32 v29, 64, v34
	v_or_b32_e32 v28, 0x80, v34
	v_mov_b32_e32 v18, s43
	v_mov_b32_e32 v36, s45
	s_and_b64 vcc, exec, s[18:19]
	s_waitcnt vmcnt(1)
	v_xor_b32_e32 v12, 0xffff8000, v7
	v_xor_b32_sdwa v7, v7, s22 dst_sel:WORD_1 dst_unused:UNUSED_PAD src0_sel:WORD_1 src1_sel:DWORD
	v_xor_b32_e32 v13, 0xffff8000, v8
	v_xor_b32_sdwa v8, v8, s22 dst_sel:WORD_1 dst_unused:UNUSED_PAD src0_sel:WORD_1 src1_sel:DWORD
	;; [unrolled: 2-line block ×4, first 2 shown]
	v_or_b32_sdwa v30, v7, v12 dst_sel:DWORD dst_unused:UNUSED_PAD src0_sel:DWORD src1_sel:WORD_0
	v_or_b32_sdwa v31, v8, v13 dst_sel:DWORD dst_unused:UNUSED_PAD src0_sel:DWORD src1_sel:WORD_0
	;; [unrolled: 1-line block ×4, first 2 shown]
	s_cbranch_vccz .LBB30_19
; %bb.1:
	ds_bpermute_b32 v7, v34, v30
	ds_bpermute_b32 v8, v34, v31
	;; [unrolled: 1-line block ×5, first 2 shown]
	s_waitcnt lgkmcnt(4)
	v_cndmask_b32_e64 v7, 0, v7, s[8:9]
	s_waitcnt lgkmcnt(3)
	v_cndmask_b32_e64 v7, v7, v8, s[6:7]
	ds_bpermute_b32 v8, v29, v31
	s_waitcnt lgkmcnt(3)
	v_cndmask_b32_e64 v7, v7, v9, s[0:1]
	ds_bpermute_b32 v9, v29, v32
	ds_bpermute_b32 v13, v29, v33
	s_waitcnt lgkmcnt(4)
	v_cndmask_b32_e64 v7, v7, v10, s[2:3]
	s_waitcnt lgkmcnt(3)
	v_cndmask_b32_e64 v10, 0, v12, s[8:9]
	;; [unrolled: 2-line block ×4, first 2 shown]
	ds_bpermute_b32 v9, v28, v30
	ds_bpermute_b32 v10, v28, v31
	;; [unrolled: 1-line block ×3, first 2 shown]
	v_and_or_b32 v14, v35, 63, v22
	s_waitcnt lgkmcnt(3)
	v_cndmask_b32_e64 v8, v8, v13, s[2:3]
	ds_bpermute_b32 v13, v28, v33
	v_lshlrev_b32_e32 v15, 2, v14
	ds_bpermute_b32 v14, v15, v30
	s_waitcnt lgkmcnt(4)
	v_cndmask_b32_e64 v9, 0, v9, s[8:9]
	s_waitcnt lgkmcnt(3)
	v_cndmask_b32_e64 v9, v9, v10, s[6:7]
	;; [unrolled: 2-line block ×3, first 2 shown]
	ds_bpermute_b32 v12, v15, v31
	s_waitcnt lgkmcnt(2)
	v_cndmask_b32_e64 v9, v9, v13, s[2:3]
	ds_bpermute_b32 v13, v15, v32
	s_waitcnt lgkmcnt(2)
	v_cndmask_b32_e64 v10, 0, v14, s[8:9]
	ds_bpermute_b32 v14, v15, v33
	s_waitcnt vmcnt(0)
	ds_bpermute_b32 v17, v34, v3
	ds_bpermute_b32 v37, v34, v4
	s_waitcnt lgkmcnt(4)
	v_cndmask_b32_e64 v10, v10, v12, s[6:7]
	s_waitcnt lgkmcnt(3)
	v_cndmask_b32_e64 v10, v10, v13, s[0:1]
	ds_bpermute_b32 v13, v34, v5
	s_waitcnt lgkmcnt(3)
	v_cndmask_b32_e64 v10, v10, v14, s[2:3]
	s_waitcnt lgkmcnt(2)
	v_cndmask_b32_e64 v12, 0, v17, s[8:9]
	ds_bpermute_b32 v14, v34, v6
	ds_bpermute_b32 v17, v29, v3
	s_waitcnt lgkmcnt(3)
	v_cndmask_b32_e64 v12, v12, v37, s[6:7]
	ds_bpermute_b32 v37, v29, v4
	ds_bpermute_b32 v38, v29, v5
	s_waitcnt lgkmcnt(4)
	v_cndmask_b32_e64 v12, v12, v13, s[0:1]
	s_waitcnt lgkmcnt(3)
	v_cndmask_b32_e64 v12, v12, v14, s[2:3]
	;; [unrolled: 2-line block ×3, first 2 shown]
	ds_bpermute_b32 v14, v29, v6
	ds_bpermute_b32 v17, v28, v3
	s_waitcnt lgkmcnt(3)
	v_cndmask_b32_e64 v13, v13, v37, s[6:7]
	ds_bpermute_b32 v37, v28, v4
	s_waitcnt lgkmcnt(3)
	v_cndmask_b32_e64 v13, v13, v38, s[0:1]
	;; [unrolled: 3-line block ×3, first 2 shown]
	s_waitcnt lgkmcnt(2)
	v_cndmask_b32_e64 v14, 0, v17, s[8:9]
	ds_bpermute_b32 v17, v15, v3
	s_waitcnt lgkmcnt(2)
	v_cndmask_b32_e64 v14, v14, v37, s[6:7]
	ds_bpermute_b32 v37, v15, v4
	;; [unrolled: 3-line block ×3, first 2 shown]
	s_waitcnt lgkmcnt(0)
	s_barrier
	s_load_dword s18, s[4:5], 0x24
	ds_bpermute_b32 v15, v15, v6
	v_cndmask_b32_e64 v17, 0, v17, s[8:9]
	v_cndmask_b32_e64 v17, v17, v37, s[6:7]
	ds_bpermute_b32 v39, v28, v6
	v_cndmask_b32_e64 v17, v17, v38, s[0:1]
	s_waitcnt lgkmcnt(0)
	s_lshr_b32 s19, s18, 16
	v_cndmask_b32_e64 v15, v17, v15, s[2:3]
	s_and_b32 s18, s18, 0xffff
	v_mad_u32_u24 v17, v2, s19, v1
	v_mad_u32_u24 v40, v17, s18, v0
	v_or_b32_e32 v17, 63, v0
	v_cmp_eq_u32_e64 s[28:29], v0, v17
	v_subrev_co_u32_e64 v17, s[30:31], 1, v21
	v_cmp_lt_i32_e32 vcc, v17, v22
	s_movk_i32 s33, 0x100
	v_cndmask_b32_e64 v14, v14, v39, s[2:3]
	v_cndmask_b32_e32 v17, v17, v21, vcc
	v_and_b32_e32 v37, 4, v26
	v_and_or_b32 v39, v20, s33, v21
	v_lshrrev_b32_e32 v40, 4, v40
	v_cmp_eq_u32_e64 s[18:19], 0, v25
	v_cmp_lt_u32_e64 s[20:21], 1, v25
	v_cmp_lt_u32_e64 s[22:23], 3, v25
	;; [unrolled: 1-line block ×3, first 2 shown]
	v_cmp_eq_u32_e64 s[26:27], 0, v27
	v_lshlrev_b32_e32 v17, 2, v17
	v_cmp_eq_u32_e64 s[34:35], 0, v24
	v_add_u32_e32 v38, -4, v37
	v_lshlrev_b32_e32 v39, 2, v39
	v_and_b32_e32 v41, 0xffffffc, v40
	s_sub_i32 s43, 0, s46
	s_sub_i32 s33, s47, s46
	s_mov_b32 s49, s48
	s_mov_b32 s50, s48
	;; [unrolled: 1-line block ×3, first 2 shown]
	v_add_u32_e32 v45, v19, v23
	s_branch .LBB30_3
.LBB30_2:                               ;   in Loop: Header=BB30_3 Depth=1
	s_andn2_b64 vcc, exec, s[36:37]
	s_mov_b32 s33, s39
	s_mov_b32 s43, s38
	s_cbranch_vccz .LBB30_20
.LBB30_3:                               ; =>This Inner Loop Header: Depth=1
	s_max_i32 s45, s46, 0
	s_add_i32 s36, s45, s43
	s_max_i32 s52, s43, 0
	s_sub_i32 s40, s36, s52
	s_min_u32 s36, s33, 8
	s_add_i32 s37, s47, s43
	s_min_u32 s41, s37, 8
	s_add_i32 s53, s36, s46
	s_cmp_lt_i32 s46, 16
	s_cselect_b64 s[36:37], -1, 0
	s_cmp_gt_i32 s53, 0
	s_cselect_b64 s[38:39], -1, 0
	s_and_b64 vcc, s[36:37], s[38:39]
	s_cmp_lt_i32 s46, 32
	s_cselect_b64 s[36:37], -1, 0
	s_cmp_gt_i32 s53, 16
	s_cselect_b64 s[38:39], -1, 0
	s_add_i32 s40, s40, s53
	s_min_i32 s40, s40, 16
	s_sub_i32 s40, s40, s45
	s_lshl_b32 s40, -1, s40
	s_max_i32 s55, s46, 16
	s_not_b32 s54, s40
	s_add_i32 s40, s43, 16
	s_add_i32 s55, s55, -16
	s_max_i32 s53, s40, 0
	s_add_i32 s40, s55, s41
	s_sub_i32 s40, s40, s53
	s_min_i32 s40, s40, 16
	v_mov_b32_e32 v49, v7
	v_mov_b32_e32 v48, v8
	v_mov_b32_e32 v47, v9
	v_mov_b32_e32 v46, v10
	v_mov_b32_e32 v7, s48
	v_mov_b32_e32 v9, s50
	s_sub_i32 s40, s40, s55
	v_mov_b32_e32 v8, s49
	v_mov_b32_e32 v10, s51
	s_lshl_b32 s40, -1, s40
	ds_write2_b64 v19, v[7:8], v[9:10] offset0:1 offset1:2
	s_not_b32 s56, s40
	v_lshrrev_b32_sdwa v7, s45, v49 dst_sel:DWORD dst_unused:UNUSED_PAD src0_sel:DWORD src1_sel:WORD_1
	v_lshrrev_b32_sdwa v8, s55, v49 dst_sel:DWORD dst_unused:UNUSED_PAD src0_sel:DWORD src1_sel:WORD_0
	v_and_b32_e32 v7, s54, v7
	v_and_b32_e32 v8, s56, v8
	v_lshlrev_b32_e32 v7, s52, v7
	v_lshlrev_b32_e32 v8, s53, v8
	s_and_b64 s[36:37], s[36:37], s[38:39]
	v_cndmask_b32_e32 v7, 0, v7, vcc
	v_cndmask_b32_e64 v8, 0, v8, s[36:37]
	v_or_b32_e32 v7, v7, v8
	v_and_b32_e32 v8, 1, v7
	v_add_co_u32_e64 v10, s[38:39], -1, v8
	v_mov_b32_e32 v44, v12
	v_addc_co_u32_e64 v12, s[38:39], 0, -1, s[38:39]
	v_cmp_ne_u32_e64 s[38:39], 0, v8
	v_xor_b32_e32 v8, s39, v12
	v_lshlrev_b32_e32 v12, 30, v7
	v_xor_b32_e32 v10, s38, v10
	v_cmp_gt_i64_e64 s[38:39], 0, v[11:12]
	v_not_b32_e32 v12, v12
	v_ashrrev_i32_e32 v12, 31, v12
	v_mov_b32_e32 v43, v13
	v_and_b32_e32 v10, exec_lo, v10
	v_xor_b32_e32 v13, s39, v12
	v_xor_b32_e32 v12, s38, v12
	v_and_b32_e32 v10, v10, v12
	v_lshlrev_b32_e32 v12, 29, v7
	v_cmp_gt_i64_e64 s[38:39], 0, v[11:12]
	v_not_b32_e32 v12, v12
	v_and_b32_e32 v8, exec_hi, v8
	v_ashrrev_i32_e32 v12, 31, v12
	v_and_b32_e32 v8, v8, v13
	v_xor_b32_e32 v13, s39, v12
	v_xor_b32_e32 v12, s38, v12
	v_and_b32_e32 v10, v10, v12
	v_lshlrev_b32_e32 v12, 28, v7
	v_cmp_gt_i64_e64 s[38:39], 0, v[11:12]
	v_not_b32_e32 v12, v12
	v_ashrrev_i32_e32 v12, 31, v12
	v_and_b32_e32 v8, v8, v13
	v_xor_b32_e32 v13, s39, v12
	v_xor_b32_e32 v12, s38, v12
	v_and_b32_e32 v10, v10, v12
	v_lshlrev_b32_e32 v12, 27, v7
	v_cmp_gt_i64_e64 s[38:39], 0, v[11:12]
	v_not_b32_e32 v12, v12
	v_ashrrev_i32_e32 v12, 31, v12
	v_and_b32_e32 v8, v8, v13
	v_xor_b32_e32 v13, s39, v12
	v_xor_b32_e32 v12, s38, v12
	v_and_b32_e32 v10, v10, v12
	v_lshlrev_b32_e32 v12, 26, v7
	v_cmp_gt_i64_e64 s[38:39], 0, v[11:12]
	v_not_b32_e32 v12, v12
	v_ashrrev_i32_e32 v12, 31, v12
	v_and_b32_e32 v8, v8, v13
	v_xor_b32_e32 v13, s39, v12
	v_xor_b32_e32 v12, s38, v12
	v_and_b32_e32 v10, v10, v12
	v_lshlrev_b32_e32 v12, 25, v7
	v_cmp_gt_i64_e64 s[38:39], 0, v[11:12]
	v_not_b32_e32 v12, v12
	v_ashrrev_i32_e32 v12, 31, v12
	v_and_b32_e32 v8, v8, v13
	v_xor_b32_e32 v13, s39, v12
	v_xor_b32_e32 v12, s38, v12
	v_and_b32_e32 v10, v10, v12
	v_lshlrev_b32_e32 v12, 24, v7
	v_lshlrev_b32_e32 v9, 3, v7
	v_cmp_gt_i64_e64 s[38:39], 0, v[11:12]
	v_not_b32_e32 v7, v12
	v_ashrrev_i32_e32 v7, 31, v7
	v_xor_b32_e32 v12, s39, v7
	v_xor_b32_e32 v7, s38, v7
	v_and_b32_e32 v8, v8, v13
	v_and_b32_e32 v7, v10, v7
	;; [unrolled: 1-line block ×3, first 2 shown]
	v_mbcnt_lo_u32_b32 v10, v7, 0
	v_mbcnt_hi_u32_b32 v13, v8, v10
	v_cmp_ne_u64_e64 s[38:39], 0, v[7:8]
	v_cmp_eq_u32_e64 s[40:41], 0, v13
	v_mov_b32_e32 v40, v15
	v_mov_b32_e32 v42, v14
	s_and_b64 s[40:41], s[40:41], s[38:39]
	v_add_u32_e32 v14, v41, v9
	s_waitcnt lgkmcnt(0)
	s_barrier
	; wave barrier
	s_and_saveexec_b64 s[38:39], s[40:41]
; %bb.4:                                ;   in Loop: Header=BB30_3 Depth=1
	v_bcnt_u32_b32 v7, v7, 0
	v_bcnt_u32_b32 v7, v8, v7
	ds_write_b32 v14, v7 offset:8
; %bb.5:                                ;   in Loop: Header=BB30_3 Depth=1
	s_or_b64 exec, exec, s[38:39]
	v_lshrrev_b32_sdwa v7, s45, v48 dst_sel:DWORD dst_unused:UNUSED_PAD src0_sel:DWORD src1_sel:WORD_1
	v_lshrrev_b32_sdwa v8, s55, v48 dst_sel:DWORD dst_unused:UNUSED_PAD src0_sel:DWORD src1_sel:WORD_0
	v_and_b32_e32 v7, s54, v7
	v_and_b32_e32 v8, s56, v8
	v_lshlrev_b32_e32 v7, s52, v7
	v_lshlrev_b32_e32 v8, s53, v8
	v_cndmask_b32_e32 v7, 0, v7, vcc
	v_cndmask_b32_e64 v8, 0, v8, s[36:37]
	v_or_b32_e32 v7, v7, v8
	v_lshlrev_b32_e32 v8, 3, v7
	v_add_u32_e32 v50, v41, v8
	v_and_b32_e32 v8, 1, v7
	v_add_co_u32_e64 v9, s[38:39], -1, v8
	v_addc_co_u32_e64 v10, s[38:39], 0, -1, s[38:39]
	v_cmp_ne_u32_e64 s[38:39], 0, v8
	v_lshlrev_b32_e32 v12, 30, v7
	v_xor_b32_e32 v8, s39, v10
	v_xor_b32_e32 v9, s38, v9
	v_cmp_gt_i64_e64 s[38:39], 0, v[11:12]
	v_not_b32_e32 v10, v12
	v_ashrrev_i32_e32 v10, 31, v10
	v_and_b32_e32 v8, exec_hi, v8
	v_xor_b32_e32 v12, s39, v10
	v_and_b32_e32 v9, exec_lo, v9
	v_xor_b32_e32 v10, s38, v10
	v_and_b32_e32 v8, v8, v12
	v_lshlrev_b32_e32 v12, 29, v7
	v_and_b32_e32 v9, v9, v10
	v_cmp_gt_i64_e64 s[38:39], 0, v[11:12]
	v_not_b32_e32 v10, v12
	v_ashrrev_i32_e32 v10, 31, v10
	v_xor_b32_e32 v12, s39, v10
	v_xor_b32_e32 v10, s38, v10
	v_and_b32_e32 v8, v8, v12
	v_lshlrev_b32_e32 v12, 28, v7
	v_and_b32_e32 v9, v9, v10
	v_cmp_gt_i64_e64 s[38:39], 0, v[11:12]
	v_not_b32_e32 v10, v12
	v_ashrrev_i32_e32 v10, 31, v10
	v_xor_b32_e32 v12, s39, v10
	;; [unrolled: 8-line block ×5, first 2 shown]
	v_and_b32_e32 v8, v8, v12
	v_lshlrev_b32_e32 v12, 24, v7
	v_xor_b32_e32 v10, s38, v10
	v_cmp_gt_i64_e64 s[38:39], 0, v[11:12]
	v_not_b32_e32 v7, v12
	v_ashrrev_i32_e32 v7, 31, v7
	v_and_b32_e32 v9, v9, v10
	v_xor_b32_e32 v10, s39, v7
	v_xor_b32_e32 v7, s38, v7
	; wave barrier
	ds_read_b32 v15, v50 offset:8
	v_and_b32_e32 v7, v9, v7
	v_and_b32_e32 v8, v8, v10
	v_mbcnt_lo_u32_b32 v9, v7, 0
	v_mbcnt_hi_u32_b32 v51, v8, v9
	v_cmp_ne_u64_e64 s[38:39], 0, v[7:8]
	v_cmp_eq_u32_e64 s[40:41], 0, v51
	s_and_b64 s[40:41], s[40:41], s[38:39]
	; wave barrier
	s_and_saveexec_b64 s[38:39], s[40:41]
	s_cbranch_execz .LBB30_7
; %bb.6:                                ;   in Loop: Header=BB30_3 Depth=1
	v_bcnt_u32_b32 v7, v7, 0
	v_bcnt_u32_b32 v7, v8, v7
	s_waitcnt lgkmcnt(0)
	v_add_u32_e32 v7, v15, v7
	ds_write_b32 v50, v7 offset:8
.LBB30_7:                               ;   in Loop: Header=BB30_3 Depth=1
	s_or_b64 exec, exec, s[38:39]
	v_lshrrev_b32_sdwa v7, s45, v47 dst_sel:DWORD dst_unused:UNUSED_PAD src0_sel:DWORD src1_sel:WORD_1
	v_lshrrev_b32_sdwa v8, s55, v47 dst_sel:DWORD dst_unused:UNUSED_PAD src0_sel:DWORD src1_sel:WORD_0
	v_and_b32_e32 v7, s54, v7
	v_and_b32_e32 v8, s56, v8
	v_lshlrev_b32_e32 v7, s52, v7
	v_lshlrev_b32_e32 v8, s53, v8
	v_cndmask_b32_e32 v7, 0, v7, vcc
	v_cndmask_b32_e64 v8, 0, v8, s[36:37]
	v_or_b32_e32 v7, v7, v8
	v_lshlrev_b32_e32 v8, 3, v7
	v_add_u32_e32 v53, v41, v8
	v_and_b32_e32 v8, 1, v7
	v_add_co_u32_e64 v9, s[38:39], -1, v8
	v_addc_co_u32_e64 v10, s[38:39], 0, -1, s[38:39]
	v_cmp_ne_u32_e64 s[38:39], 0, v8
	v_lshlrev_b32_e32 v12, 30, v7
	v_xor_b32_e32 v8, s39, v10
	v_xor_b32_e32 v9, s38, v9
	v_cmp_gt_i64_e64 s[38:39], 0, v[11:12]
	v_not_b32_e32 v10, v12
	v_ashrrev_i32_e32 v10, 31, v10
	v_and_b32_e32 v8, exec_hi, v8
	v_xor_b32_e32 v12, s39, v10
	v_and_b32_e32 v9, exec_lo, v9
	v_xor_b32_e32 v10, s38, v10
	v_and_b32_e32 v8, v8, v12
	v_lshlrev_b32_e32 v12, 29, v7
	v_and_b32_e32 v9, v9, v10
	v_cmp_gt_i64_e64 s[38:39], 0, v[11:12]
	v_not_b32_e32 v10, v12
	v_ashrrev_i32_e32 v10, 31, v10
	v_xor_b32_e32 v12, s39, v10
	v_xor_b32_e32 v10, s38, v10
	v_and_b32_e32 v8, v8, v12
	v_lshlrev_b32_e32 v12, 28, v7
	v_and_b32_e32 v9, v9, v10
	v_cmp_gt_i64_e64 s[38:39], 0, v[11:12]
	v_not_b32_e32 v10, v12
	v_ashrrev_i32_e32 v10, 31, v10
	v_xor_b32_e32 v12, s39, v10
	;; [unrolled: 8-line block ×5, first 2 shown]
	v_and_b32_e32 v8, v8, v12
	v_lshlrev_b32_e32 v12, 24, v7
	v_xor_b32_e32 v10, s38, v10
	v_cmp_gt_i64_e64 s[38:39], 0, v[11:12]
	v_not_b32_e32 v7, v12
	v_ashrrev_i32_e32 v7, 31, v7
	v_and_b32_e32 v9, v9, v10
	v_xor_b32_e32 v10, s39, v7
	v_xor_b32_e32 v7, s38, v7
	; wave barrier
	ds_read_b32 v52, v53 offset:8
	v_and_b32_e32 v7, v9, v7
	v_and_b32_e32 v8, v8, v10
	v_mbcnt_lo_u32_b32 v9, v7, 0
	v_mbcnt_hi_u32_b32 v54, v8, v9
	v_cmp_ne_u64_e64 s[38:39], 0, v[7:8]
	v_cmp_eq_u32_e64 s[40:41], 0, v54
	s_and_b64 s[40:41], s[40:41], s[38:39]
	; wave barrier
	s_and_saveexec_b64 s[38:39], s[40:41]
	s_cbranch_execz .LBB30_9
; %bb.8:                                ;   in Loop: Header=BB30_3 Depth=1
	v_bcnt_u32_b32 v7, v7, 0
	v_bcnt_u32_b32 v7, v8, v7
	s_waitcnt lgkmcnt(0)
	v_add_u32_e32 v7, v52, v7
	ds_write_b32 v53, v7 offset:8
.LBB30_9:                               ;   in Loop: Header=BB30_3 Depth=1
	s_or_b64 exec, exec, s[38:39]
	v_lshrrev_b32_sdwa v7, s45, v46 dst_sel:DWORD dst_unused:UNUSED_PAD src0_sel:DWORD src1_sel:WORD_1
	v_lshrrev_b32_sdwa v8, s55, v46 dst_sel:DWORD dst_unused:UNUSED_PAD src0_sel:DWORD src1_sel:WORD_0
	v_and_b32_e32 v7, s54, v7
	v_and_b32_e32 v8, s56, v8
	v_lshlrev_b32_e32 v7, s52, v7
	v_lshlrev_b32_e32 v8, s53, v8
	v_cndmask_b32_e32 v7, 0, v7, vcc
	v_cndmask_b32_e64 v8, 0, v8, s[36:37]
	v_or_b32_e32 v7, v7, v8
	v_lshlrev_b32_e32 v8, 3, v7
	v_add_u32_e32 v56, v41, v8
	v_and_b32_e32 v8, 1, v7
	v_add_co_u32_e32 v9, vcc, -1, v8
	v_addc_co_u32_e64 v10, s[36:37], 0, -1, vcc
	v_cmp_ne_u32_e32 vcc, 0, v8
	v_lshlrev_b32_e32 v12, 30, v7
	v_xor_b32_e32 v8, vcc_hi, v10
	v_xor_b32_e32 v9, vcc_lo, v9
	v_cmp_gt_i64_e32 vcc, 0, v[11:12]
	v_not_b32_e32 v10, v12
	v_ashrrev_i32_e32 v10, 31, v10
	v_and_b32_e32 v8, exec_hi, v8
	v_xor_b32_e32 v12, vcc_hi, v10
	v_and_b32_e32 v9, exec_lo, v9
	v_xor_b32_e32 v10, vcc_lo, v10
	v_and_b32_e32 v8, v8, v12
	v_lshlrev_b32_e32 v12, 29, v7
	v_and_b32_e32 v9, v9, v10
	v_cmp_gt_i64_e32 vcc, 0, v[11:12]
	v_not_b32_e32 v10, v12
	v_ashrrev_i32_e32 v10, 31, v10
	v_xor_b32_e32 v12, vcc_hi, v10
	v_xor_b32_e32 v10, vcc_lo, v10
	v_and_b32_e32 v8, v8, v12
	v_lshlrev_b32_e32 v12, 28, v7
	v_and_b32_e32 v9, v9, v10
	v_cmp_gt_i64_e32 vcc, 0, v[11:12]
	v_not_b32_e32 v10, v12
	v_ashrrev_i32_e32 v10, 31, v10
	v_xor_b32_e32 v12, vcc_hi, v10
	;; [unrolled: 8-line block ×5, first 2 shown]
	v_and_b32_e32 v8, v8, v12
	v_lshlrev_b32_e32 v12, 24, v7
	v_xor_b32_e32 v10, vcc_lo, v10
	v_cmp_gt_i64_e32 vcc, 0, v[11:12]
	v_not_b32_e32 v7, v12
	v_ashrrev_i32_e32 v7, 31, v7
	v_and_b32_e32 v9, v9, v10
	v_xor_b32_e32 v10, vcc_hi, v7
	v_xor_b32_e32 v7, vcc_lo, v7
	; wave barrier
	ds_read_b32 v55, v56 offset:8
	v_and_b32_e32 v7, v9, v7
	v_and_b32_e32 v8, v8, v10
	v_mbcnt_lo_u32_b32 v9, v7, 0
	v_mbcnt_hi_u32_b32 v12, v8, v9
	v_cmp_ne_u64_e32 vcc, 0, v[7:8]
	v_cmp_eq_u32_e64 s[36:37], 0, v12
	s_and_b64 s[38:39], s[36:37], vcc
	; wave barrier
	s_and_saveexec_b64 s[36:37], s[38:39]
	s_cbranch_execz .LBB30_11
; %bb.10:                               ;   in Loop: Header=BB30_3 Depth=1
	v_bcnt_u32_b32 v7, v7, 0
	v_bcnt_u32_b32 v7, v8, v7
	s_waitcnt lgkmcnt(0)
	v_add_u32_e32 v7, v55, v7
	ds_write_b32 v56, v7 offset:8
.LBB30_11:                              ;   in Loop: Header=BB30_3 Depth=1
	s_or_b64 exec, exec, s[36:37]
	; wave barrier
	s_waitcnt lgkmcnt(0)
	s_barrier
	ds_read2_b64 v[7:10], v19 offset0:1 offset1:2
	s_waitcnt lgkmcnt(0)
	v_add_u32_e32 v57, v8, v7
	v_add3_u32 v10, v57, v9, v10
	s_nop 1
	v_mov_b32_dpp v57, v10 row_shr:1 row_mask:0xf bank_mask:0xf
	v_cndmask_b32_e64 v57, v57, 0, s[18:19]
	v_add_u32_e32 v10, v57, v10
	s_nop 1
	v_mov_b32_dpp v57, v10 row_shr:2 row_mask:0xf bank_mask:0xf
	v_cndmask_b32_e64 v57, 0, v57, s[20:21]
	v_add_u32_e32 v10, v10, v57
	;; [unrolled: 4-line block ×4, first 2 shown]
	s_nop 1
	v_mov_b32_dpp v57, v10 row_bcast:15 row_mask:0xf bank_mask:0xf
	v_cndmask_b32_e64 v57, v57, 0, s[26:27]
	v_add_u32_e32 v10, v10, v57
	s_nop 1
	v_mov_b32_dpp v57, v10 row_bcast:31 row_mask:0xf bank_mask:0xf
	v_cndmask_b32_e64 v57, 0, v57, s[16:17]
	v_add_u32_e32 v10, v10, v57
	s_and_saveexec_b64 s[36:37], s[28:29]
; %bb.12:                               ;   in Loop: Header=BB30_3 Depth=1
	ds_write_b32 v37, v10
; %bb.13:                               ;   in Loop: Header=BB30_3 Depth=1
	s_or_b64 exec, exec, s[36:37]
	s_waitcnt lgkmcnt(0)
	s_barrier
	s_and_saveexec_b64 s[36:37], s[10:11]
	s_cbranch_execz .LBB30_15
; %bb.14:                               ;   in Loop: Header=BB30_3 Depth=1
	ds_read_b32 v57, v45
	s_waitcnt lgkmcnt(0)
	s_nop 0
	v_mov_b32_dpp v58, v57 row_shr:1 row_mask:0xf bank_mask:0xf
	v_cndmask_b32_e64 v58, v58, 0, s[34:35]
	v_add_u32_e32 v57, v58, v57
	ds_write_b32 v45, v57
.LBB30_15:                              ;   in Loop: Header=BB30_3 Depth=1
	s_or_b64 exec, exec, s[36:37]
	v_mov_b32_e32 v57, 0
	s_waitcnt lgkmcnt(0)
	s_barrier
	s_and_saveexec_b64 s[36:37], s[12:13]
; %bb.16:                               ;   in Loop: Header=BB30_3 Depth=1
	ds_read_b32 v57, v38
; %bb.17:                               ;   in Loop: Header=BB30_3 Depth=1
	s_or_b64 exec, exec, s[36:37]
	s_waitcnt lgkmcnt(0)
	v_add_u32_e32 v10, v57, v10
	ds_bpermute_b32 v10, v17, v10
	v_lshlrev_b32_e32 v13, 2, v13
	s_add_i32 s46, s46, 8
	s_cmp_ge_u32 s46, s47
	s_mov_b64 s[36:37], -1
	s_waitcnt lgkmcnt(0)
	v_cndmask_b32_e64 v10, v10, v57, s[30:31]
	v_cndmask_b32_e64 v57, v10, 0, s[14:15]
	v_add_u32_e32 v58, v57, v7
	v_add_u32_e32 v7, v58, v8
	;; [unrolled: 1-line block ×3, first 2 shown]
	ds_write2_b64 v19, v[57:58], v[7:8] offset0:1 offset1:2
	s_waitcnt lgkmcnt(0)
	s_barrier
	ds_read_b32 v7, v14 offset:8
	ds_read_b32 v8, v50 offset:8
	;; [unrolled: 1-line block ×4, first 2 shown]
	v_readfirstlane_b32 s38, v0
	s_waitcnt lgkmcnt(3)
	v_lshl_add_u32 v50, v7, 2, v13
	v_lshlrev_b32_e32 v7, 2, v51
	v_lshlrev_b32_e32 v13, 2, v15
	s_waitcnt lgkmcnt(2)
	v_lshlrev_b32_e32 v8, 2, v8
	v_add3_u32 v51, v7, v13, v8
	v_lshlrev_b32_e32 v7, 2, v54
	v_lshlrev_b32_e32 v8, 2, v52
	s_waitcnt lgkmcnt(1)
	v_lshlrev_b32_e32 v9, 2, v9
	v_add3_u32 v52, v7, v8, v9
	;; [unrolled: 5-line block ×3, first 2 shown]
	v_readfirstlane_b32 s39, v0
                                        ; implicit-def: $vgpr15
                                        ; implicit-def: $vgpr13
                                        ; implicit-def: $vgpr7
                                        ; implicit-def: $vgpr9
	s_cbranch_scc1 .LBB30_2
; %bb.18:                               ;   in Loop: Header=BB30_3 Depth=1
	s_barrier
	ds_write_b32 v50, v49
	ds_write_b32 v51, v48
	;; [unrolled: 1-line block ×4, first 2 shown]
	s_waitcnt lgkmcnt(0)
	s_barrier
	ds_read2st64_b32 v[7:8], v39 offset1:1
	ds_read2st64_b32 v[9:10], v39 offset0:2 offset1:3
	s_waitcnt lgkmcnt(0)
	s_barrier
	ds_write_b32 v50, v44
	ds_write_b32 v51, v43
	;; [unrolled: 1-line block ×4, first 2 shown]
	s_waitcnt lgkmcnt(0)
	s_barrier
	ds_read2st64_b32 v[12:13], v39 offset1:1
	ds_read2st64_b32 v[14:15], v39 offset0:2 offset1:3
	s_add_i32 s38, s43, -8
	s_add_i32 s39, s33, -8
	s_mov_b64 s[36:37], 0
	s_waitcnt lgkmcnt(0)
	s_barrier
	s_branch .LBB30_2
.LBB30_19:
	s_mov_b64 s[10:11], -1
                                        ; implicit-def: $vgpr14
                                        ; implicit-def: $vgpr10
	s_branch .LBB30_21
.LBB30_20:
	s_barrier
	ds_write_b32 v50, v49
	ds_write_b32 v51, v48
	;; [unrolled: 1-line block ×4, first 2 shown]
	s_waitcnt lgkmcnt(0)
	s_barrier
	ds_read2_b64 v[7:10], v19 offset1:1
	s_waitcnt lgkmcnt(0)
	s_barrier
	ds_write_b32 v50, v44
	ds_write_b32 v51, v43
	;; [unrolled: 1-line block ×4, first 2 shown]
	s_waitcnt lgkmcnt(0)
	s_barrier
	ds_read2_b64 v[11:14], v19 offset1:1
	s_mov_b64 s[10:11], 0
.LBB30_21:
	v_add_co_u32_e32 v17, vcc, s42, v16
	v_addc_co_u32_e32 v18, vcc, 0, v18, vcc
	v_add_co_u32_e32 v15, vcc, s44, v16
	v_addc_co_u32_e32 v16, vcc, 0, v36, vcc
	s_and_b64 vcc, exec, s[10:11]
	s_cbranch_vccz .LBB30_55
; %bb.22:
	v_and_or_b32 v7, v35, 63, v22
	s_mov_b32 s10, 0
	v_lshlrev_b32_e32 v49, 2, v7
	s_waitcnt vmcnt(0)
	ds_bpermute_b32 v7, v34, v3
	ds_bpermute_b32 v35, v29, v3
	s_mov_b32 s12, s10
	ds_bpermute_b32 v40, v28, v3
	ds_bpermute_b32 v44, v49, v3
	;; [unrolled: 1-line block ×5, first 2 shown]
	s_mov_b32 s11, s10
	s_mov_b32 s13, s10
	v_mov_b32_e32 v9, s10
	s_waitcnt lgkmcnt(7)
	v_mov_b32_e32 v11, s12
	ds_bpermute_b32 v41, v28, v4
	ds_bpermute_b32 v45, v49, v4
	ds_bpermute_b32 v4, v34, v31
	ds_bpermute_b32 v13, v34, v5
	ds_bpermute_b32 v37, v29, v5
	v_mov_b32_e32 v10, s11
	v_mov_b32_e32 v12, s13
	ds_bpermute_b32 v42, v28, v5
	ds_bpermute_b32 v38, v49, v5
	;; [unrolled: 1-line block ×3, first 2 shown]
	s_waitcnt lgkmcnt(0)
	s_barrier
	ds_write2_b64 v19, v[9:10], v[11:12] offset0:1 offset1:2
	ds_bpermute_b32 v9, v34, v33
	v_cndmask_b32_e64 v3, 0, v3, s[8:9]
	v_cndmask_b32_e64 v3, v3, v4, s[6:7]
	;; [unrolled: 1-line block ×3, first 2 shown]
	ds_bpermute_b32 v14, v34, v6
	ds_bpermute_b32 v39, v29, v6
	;; [unrolled: 1-line block ×4, first 2 shown]
	s_waitcnt lgkmcnt(4)
	v_cndmask_b32_e64 v6, v3, v9, s[2:3]
	v_mov_b32_e32 v3, 1
	v_and_b32_sdwa v3, v6, v3 dst_sel:DWORD dst_unused:UNUSED_PAD src0_sel:WORD_1 src1_sel:DWORD
	v_add_co_u32_e64 v5, s[10:11], -1, v3
	v_cmp_ne_u32_e32 vcc, 0, v3
	v_addc_co_u32_e64 v3, s[10:11], 0, -1, s[10:11]
	v_xor_b32_e32 v3, vcc_hi, v3
	v_mov_b32_e32 v51, 30
	v_and_b32_e32 v9, exec_hi, v3
	v_mov_b32_e32 v3, 0
	v_lshlrev_b32_sdwa v4, v51, v6 dst_sel:DWORD dst_unused:UNUSED_PAD src0_sel:DWORD src1_sel:WORD_1
	v_cmp_gt_i64_e64 s[10:11], 0, v[3:4]
	v_not_b32_e32 v4, v4
	v_ashrrev_i32_e32 v4, 31, v4
	v_xor_b32_e32 v5, vcc_lo, v5
	v_xor_b32_e32 v10, s11, v4
	v_and_b32_e32 v5, exec_lo, v5
	v_xor_b32_e32 v4, s10, v4
	v_mov_b32_e32 v52, 29
	v_and_b32_e32 v5, v5, v4
	v_lshlrev_b32_sdwa v4, v52, v6 dst_sel:DWORD dst_unused:UNUSED_PAD src0_sel:DWORD src1_sel:WORD_1
	v_cmp_gt_i64_e32 vcc, 0, v[3:4]
	v_not_b32_e32 v4, v4
	v_ashrrev_i32_e32 v4, 31, v4
	v_and_b32_e32 v9, v9, v10
	v_xor_b32_e32 v10, vcc_hi, v4
	v_xor_b32_e32 v4, vcc_lo, v4
	v_mov_b32_e32 v53, 28
	v_and_b32_e32 v5, v5, v4
	v_lshlrev_b32_sdwa v4, v53, v6 dst_sel:DWORD dst_unused:UNUSED_PAD src0_sel:DWORD src1_sel:WORD_1
	v_cmp_gt_i64_e32 vcc, 0, v[3:4]
	v_not_b32_e32 v4, v4
	v_ashrrev_i32_e32 v4, 31, v4
	v_and_b32_e32 v9, v9, v10
	v_xor_b32_e32 v10, vcc_hi, v4
	v_xor_b32_e32 v4, vcc_lo, v4
	;; [unrolled: 9-line block ×4, first 2 shown]
	v_mov_b32_e32 v56, 25
	v_and_b32_e32 v5, v5, v4
	v_lshlrev_b32_sdwa v4, v56, v6 dst_sel:DWORD dst_unused:UNUSED_PAD src0_sel:DWORD src1_sel:WORD_1
	v_cmp_gt_i64_e32 vcc, 0, v[3:4]
	v_not_b32_e32 v4, v4
	s_load_dword s4, s[4:5], 0x24
	v_ashrrev_i32_e32 v4, 31, v4
	v_and_b32_e32 v9, v9, v10
	v_xor_b32_e32 v10, vcc_hi, v4
	v_xor_b32_e32 v4, vcc_lo, v4
	v_mov_b32_e32 v57, 24
	v_and_b32_e32 v9, v9, v10
	v_and_b32_e32 v10, v5, v4
	v_lshlrev_b32_sdwa v4, v57, v6 dst_sel:DWORD dst_unused:UNUSED_PAD src0_sel:DWORD src1_sel:WORD_1
	v_cmp_gt_i64_e32 vcc, 0, v[3:4]
	v_not_b32_e32 v4, v4
	v_ashrrev_i32_e32 v4, 31, v4
	s_waitcnt lgkmcnt(0)
	s_lshr_b32 s5, s4, 16
	v_xor_b32_e32 v5, vcc_hi, v4
	v_xor_b32_e32 v4, vcc_lo, v4
	v_mad_u32_u24 v1, v2, s5, v1
	s_and_b32 s4, s4, 0xffff
	v_and_b32_e32 v4, v10, v4
	ds_bpermute_b32 v58, v29, v30
	ds_bpermute_b32 v59, v29, v31
	;; [unrolled: 1-line block ×12, first 2 shown]
	v_mad_u32_u24 v1, v1, s4, v0
	v_and_b32_e32 v5, v9, v5
	v_lshrrev_b32_e32 v1, 4, v1
	s_movk_i32 s4, 0xff
	v_mbcnt_lo_u32_b32 v2, v4, 0
	v_and_b32_e32 v9, 0xffffffc, v1
	v_and_b32_sdwa v1, v6, s4 dst_sel:DWORD dst_unused:UNUSED_PAD src0_sel:WORD_1 src1_sel:DWORD
	v_mbcnt_hi_u32_b32 v28, v5, v2
	v_cmp_ne_u64_e32 vcc, 0, v[4:5]
	v_lshlrev_b32_e32 v1, 3, v1
	v_cmp_eq_u32_e64 s[4:5], 0, v28
	s_and_b64 s[10:11], s[4:5], vcc
	v_add_u32_e32 v29, v9, v1
	s_waitcnt lgkmcnt(0)
	s_barrier
	; wave barrier
	s_and_saveexec_b64 s[4:5], s[10:11]
; %bb.23:
	v_bcnt_u32_b32 v1, v4, 0
	v_bcnt_u32_b32 v1, v5, v1
	ds_write_b32 v29, v1 offset:8
; %bb.24:
	s_or_b64 exec, exec, s[4:5]
	v_cndmask_b32_e64 v1, 0, v58, s[8:9]
	v_cndmask_b32_e64 v1, v1, v59, s[6:7]
	;; [unrolled: 1-line block ×4, first 2 shown]
	v_mov_b32_e32 v58, 3
	v_lshlrev_b32_sdwa v1, v58, v5 dst_sel:DWORD dst_unused:UNUSED_PAD src0_sel:DWORD src1_sel:BYTE_2
	v_add_u32_e32 v31, v9, v1
	v_bfe_u32 v1, v5, 16, 1
	v_add_co_u32_e32 v2, vcc, -1, v1
	v_addc_co_u32_e64 v4, s[4:5], 0, -1, vcc
	v_cmp_ne_u32_e32 vcc, 0, v1
	v_xor_b32_e32 v1, vcc_hi, v4
	v_lshlrev_b32_sdwa v4, v51, v5 dst_sel:DWORD dst_unused:UNUSED_PAD src0_sel:DWORD src1_sel:WORD_1
	v_xor_b32_e32 v2, vcc_lo, v2
	v_cmp_gt_i64_e32 vcc, 0, v[3:4]
	v_not_b32_e32 v4, v4
	v_ashrrev_i32_e32 v4, 31, v4
	v_and_b32_e32 v2, exec_lo, v2
	v_xor_b32_e32 v32, vcc_hi, v4
	v_xor_b32_e32 v4, vcc_lo, v4
	v_and_b32_e32 v2, v2, v4
	v_lshlrev_b32_sdwa v4, v52, v5 dst_sel:DWORD dst_unused:UNUSED_PAD src0_sel:DWORD src1_sel:WORD_1
	v_cmp_gt_i64_e32 vcc, 0, v[3:4]
	v_not_b32_e32 v4, v4
	v_and_b32_e32 v1, exec_hi, v1
	v_ashrrev_i32_e32 v4, 31, v4
	v_and_b32_e32 v1, v1, v32
	v_xor_b32_e32 v32, vcc_hi, v4
	v_xor_b32_e32 v4, vcc_lo, v4
	v_and_b32_e32 v2, v2, v4
	v_lshlrev_b32_sdwa v4, v53, v5 dst_sel:DWORD dst_unused:UNUSED_PAD src0_sel:DWORD src1_sel:WORD_1
	v_cmp_gt_i64_e32 vcc, 0, v[3:4]
	v_not_b32_e32 v4, v4
	v_ashrrev_i32_e32 v4, 31, v4
	v_and_b32_e32 v1, v1, v32
	v_xor_b32_e32 v32, vcc_hi, v4
	v_xor_b32_e32 v4, vcc_lo, v4
	v_and_b32_e32 v2, v2, v4
	v_lshlrev_b32_sdwa v4, v54, v5 dst_sel:DWORD dst_unused:UNUSED_PAD src0_sel:DWORD src1_sel:WORD_1
	v_cmp_gt_i64_e32 vcc, 0, v[3:4]
	v_not_b32_e32 v4, v4
	;; [unrolled: 8-line block ×4, first 2 shown]
	v_ashrrev_i32_e32 v4, 31, v4
	v_and_b32_e32 v1, v1, v32
	v_xor_b32_e32 v32, vcc_hi, v4
	v_xor_b32_e32 v4, vcc_lo, v4
	v_and_b32_e32 v1, v1, v32
	v_and_b32_e32 v32, v2, v4
	v_lshlrev_b32_sdwa v4, v57, v5 dst_sel:DWORD dst_unused:UNUSED_PAD src0_sel:DWORD src1_sel:WORD_1
	v_cmp_gt_i64_e32 vcc, 0, v[3:4]
	v_not_b32_e32 v2, v4
	v_ashrrev_i32_e32 v2, 31, v2
	v_xor_b32_e32 v3, vcc_hi, v2
	v_xor_b32_e32 v4, vcc_lo, v2
	; wave barrier
	ds_read_b32 v30, v31 offset:8
	v_and_b32_e32 v2, v1, v3
	v_and_b32_e32 v1, v32, v4
	v_mbcnt_lo_u32_b32 v3, v1, 0
	v_mbcnt_hi_u32_b32 v32, v2, v3
	v_cmp_ne_u64_e32 vcc, 0, v[1:2]
	v_cmp_eq_u32_e64 s[4:5], 0, v32
	s_and_b64 s[10:11], s[4:5], vcc
	; wave barrier
	s_and_saveexec_b64 s[4:5], s[10:11]
	s_cbranch_execz .LBB30_26
; %bb.25:
	v_bcnt_u32_b32 v1, v1, 0
	v_bcnt_u32_b32 v1, v2, v1
	s_waitcnt lgkmcnt(0)
	v_add_u32_e32 v1, v30, v1
	ds_write_b32 v31, v1 offset:8
.LBB30_26:
	s_or_b64 exec, exec, s[4:5]
	v_cndmask_b32_e64 v1, 0, v46, s[8:9]
	v_cndmask_b32_e64 v1, v1, v47, s[6:7]
	;; [unrolled: 1-line block ×4, first 2 shown]
	v_bfe_u32 v2, v33, 16, 1
	v_add_co_u32_e32 v3, vcc, -1, v2
	v_addc_co_u32_e64 v4, s[4:5], 0, -1, vcc
	v_cmp_ne_u32_e32 vcc, 0, v2
	v_lshlrev_b32_sdwa v1, v58, v33 dst_sel:DWORD dst_unused:UNUSED_PAD src0_sel:DWORD src1_sel:BYTE_2
	v_xor_b32_e32 v2, vcc_hi, v4
	v_mov_b32_e32 v4, 30
	v_add_u32_e32 v47, v9, v1
	v_mov_b32_e32 v1, 0
	v_and_b32_e32 v48, exec_hi, v2
	v_lshlrev_b32_sdwa v2, v4, v33 dst_sel:DWORD dst_unused:UNUSED_PAD src0_sel:DWORD src1_sel:WORD_1
	v_xor_b32_e32 v3, vcc_lo, v3
	v_cmp_gt_i64_e32 vcc, 0, v[1:2]
	v_not_b32_e32 v2, v2
	v_ashrrev_i32_e32 v2, 31, v2
	v_and_b32_e32 v3, exec_lo, v3
	v_xor_b32_e32 v50, vcc_hi, v2
	v_xor_b32_e32 v2, vcc_lo, v2
	v_mov_b32_e32 v52, 29
	v_and_b32_e32 v3, v3, v2
	v_lshlrev_b32_sdwa v2, v52, v33 dst_sel:DWORD dst_unused:UNUSED_PAD src0_sel:DWORD src1_sel:WORD_1
	v_cmp_gt_i64_e32 vcc, 0, v[1:2]
	v_not_b32_e32 v2, v2
	v_ashrrev_i32_e32 v2, 31, v2
	v_and_b32_e32 v48, v48, v50
	v_xor_b32_e32 v50, vcc_hi, v2
	v_xor_b32_e32 v2, vcc_lo, v2
	v_mov_b32_e32 v54, 28
	v_and_b32_e32 v3, v3, v2
	v_lshlrev_b32_sdwa v2, v54, v33 dst_sel:DWORD dst_unused:UNUSED_PAD src0_sel:DWORD src1_sel:WORD_1
	v_cmp_gt_i64_e32 vcc, 0, v[1:2]
	v_not_b32_e32 v2, v2
	v_ashrrev_i32_e32 v2, 31, v2
	v_and_b32_e32 v48, v48, v50
	;; [unrolled: 9-line block ×5, first 2 shown]
	v_xor_b32_e32 v50, vcc_hi, v2
	v_xor_b32_e32 v2, vcc_lo, v2
	v_mov_b32_e32 v58, 24
	v_and_b32_e32 v48, v48, v50
	v_and_b32_e32 v50, v3, v2
	v_lshlrev_b32_sdwa v2, v58, v33 dst_sel:DWORD dst_unused:UNUSED_PAD src0_sel:DWORD src1_sel:WORD_1
	v_cmp_gt_i64_e32 vcc, 0, v[1:2]
	v_not_b32_e32 v2, v2
	v_ashrrev_i32_e32 v2, 31, v2
	v_xor_b32_e32 v3, vcc_hi, v2
	v_xor_b32_e32 v2, vcc_lo, v2
	; wave barrier
	ds_read_b32 v46, v47 offset:8
	v_and_b32_e32 v2, v50, v2
	v_and_b32_e32 v3, v48, v3
	v_mbcnt_lo_u32_b32 v48, v2, 0
	v_mbcnt_hi_u32_b32 v48, v3, v48
	v_cmp_ne_u64_e32 vcc, 0, v[2:3]
	v_cmp_eq_u32_e64 s[4:5], 0, v48
	s_and_b64 s[10:11], s[4:5], vcc
	; wave barrier
	s_and_saveexec_b64 s[4:5], s[10:11]
	s_cbranch_execz .LBB30_28
; %bb.27:
	v_bcnt_u32_b32 v2, v2, 0
	v_bcnt_u32_b32 v2, v3, v2
	s_waitcnt lgkmcnt(0)
	v_add_u32_e32 v2, v46, v2
	ds_write_b32 v47, v2 offset:8
.LBB30_28:
	s_or_b64 exec, exec, s[4:5]
	v_cndmask_b32_e64 v2, 0, v10, s[8:9]
	v_cndmask_b32_e64 v2, v2, v11, s[6:7]
	v_cndmask_b32_e64 v2, v2, v12, s[0:1]
	v_cndmask_b32_e64 v49, v2, v49, s[2:3]
	v_mov_b32_e32 v2, 3
	v_lshlrev_b32_sdwa v2, v2, v49 dst_sel:DWORD dst_unused:UNUSED_PAD src0_sel:DWORD src1_sel:BYTE_2
	v_add_u32_e32 v51, v9, v2
	v_bfe_u32 v2, v49, 16, 1
	v_add_co_u32_e32 v3, vcc, -1, v2
	v_addc_co_u32_e64 v10, s[4:5], 0, -1, vcc
	v_cmp_ne_u32_e32 vcc, 0, v2
	v_xor_b32_e32 v2, vcc_hi, v10
	v_and_b32_e32 v10, exec_hi, v2
	v_lshlrev_b32_sdwa v2, v4, v49 dst_sel:DWORD dst_unused:UNUSED_PAD src0_sel:DWORD src1_sel:WORD_1
	v_xor_b32_e32 v3, vcc_lo, v3
	v_cmp_gt_i64_e32 vcc, 0, v[1:2]
	v_not_b32_e32 v2, v2
	v_ashrrev_i32_e32 v2, 31, v2
	v_and_b32_e32 v3, exec_lo, v3
	v_xor_b32_e32 v4, vcc_hi, v2
	v_xor_b32_e32 v2, vcc_lo, v2
	v_and_b32_e32 v3, v3, v2
	v_lshlrev_b32_sdwa v2, v52, v49 dst_sel:DWORD dst_unused:UNUSED_PAD src0_sel:DWORD src1_sel:WORD_1
	v_cmp_gt_i64_e32 vcc, 0, v[1:2]
	v_not_b32_e32 v2, v2
	v_ashrrev_i32_e32 v2, 31, v2
	v_and_b32_e32 v4, v10, v4
	v_xor_b32_e32 v10, vcc_hi, v2
	v_xor_b32_e32 v2, vcc_lo, v2
	v_and_b32_e32 v3, v3, v2
	v_lshlrev_b32_sdwa v2, v54, v49 dst_sel:DWORD dst_unused:UNUSED_PAD src0_sel:DWORD src1_sel:WORD_1
	v_cmp_gt_i64_e32 vcc, 0, v[1:2]
	v_not_b32_e32 v2, v2
	v_ashrrev_i32_e32 v2, 31, v2
	v_and_b32_e32 v4, v4, v10
	;; [unrolled: 8-line block ×5, first 2 shown]
	v_xor_b32_e32 v10, vcc_hi, v2
	v_xor_b32_e32 v2, vcc_lo, v2
	v_and_b32_e32 v3, v3, v2
	v_lshlrev_b32_sdwa v2, v58, v49 dst_sel:DWORD dst_unused:UNUSED_PAD src0_sel:DWORD src1_sel:WORD_1
	v_cmp_gt_i64_e32 vcc, 0, v[1:2]
	v_not_b32_e32 v1, v2
	v_ashrrev_i32_e32 v1, 31, v1
	v_xor_b32_e32 v2, vcc_hi, v1
	v_xor_b32_e32 v1, vcc_lo, v1
	; wave barrier
	ds_read_b32 v50, v51 offset:8
	v_and_b32_e32 v4, v4, v10
	v_and_b32_e32 v1, v3, v1
	;; [unrolled: 1-line block ×3, first 2 shown]
	v_mbcnt_lo_u32_b32 v3, v1, 0
	v_mbcnt_hi_u32_b32 v52, v2, v3
	v_cmp_ne_u64_e32 vcc, 0, v[1:2]
	v_cmp_eq_u32_e64 s[4:5], 0, v52
	v_and_b32_e32 v53, 64, v0
	s_and_b64 s[10:11], s[4:5], vcc
	; wave barrier
	s_and_saveexec_b64 s[4:5], s[10:11]
	s_cbranch_execz .LBB30_30
; %bb.29:
	v_bcnt_u32_b32 v1, v1, 0
	v_bcnt_u32_b32 v1, v2, v1
	s_waitcnt lgkmcnt(0)
	v_add_u32_e32 v1, v50, v1
	ds_write_b32 v51, v1 offset:8
.LBB30_30:
	s_or_b64 exec, exec, s[4:5]
	; wave barrier
	s_waitcnt lgkmcnt(0)
	s_barrier
	ds_read2_b64 v[1:4], v19 offset0:1 offset1:2
	v_cmp_eq_u32_e64 s[12:13], 0, v25
	v_cmp_lt_u32_e64 s[14:15], 1, v25
	v_cmp_lt_u32_e64 s[16:17], 3, v25
	;; [unrolled: 1-line block ×3, first 2 shown]
	s_waitcnt lgkmcnt(0)
	v_add_u32_e32 v12, v2, v1
	v_add3_u32 v4, v12, v3, v4
	v_bfe_i32 v11, v21, 4, 1
	v_cmp_lt_u32_e64 s[20:21], 31, v21
	v_mov_b32_dpp v12, v4 row_shr:1 row_mask:0xf bank_mask:0xf
	v_cndmask_b32_e64 v12, v12, 0, s[12:13]
	v_add_u32_e32 v4, v12, v4
	v_or_b32_e32 v10, 63, v53
	v_cmp_eq_u32_e64 s[4:5], 0, v27
	v_mov_b32_dpp v12, v4 row_shr:2 row_mask:0xf bank_mask:0xf
	v_cndmask_b32_e64 v12, 0, v12, s[14:15]
	v_add_u32_e32 v4, v4, v12
	v_cmp_eq_u32_e64 s[10:11], v0, v10
	v_and_b32_e32 v10, 4, v26
	v_mov_b32_dpp v12, v4 row_shr:4 row_mask:0xf bank_mask:0xf
	v_cndmask_b32_e64 v12, 0, v12, s[16:17]
	v_add_u32_e32 v4, v4, v12
	s_nop 1
	v_mov_b32_dpp v12, v4 row_shr:8 row_mask:0xf bank_mask:0xf
	v_cndmask_b32_e64 v12, 0, v12, s[18:19]
	v_add_u32_e32 v4, v4, v12
	s_nop 1
	v_mov_b32_dpp v12, v4 row_bcast:15 row_mask:0xf bank_mask:0xf
	v_and_b32_e32 v11, v11, v12
	v_add_u32_e32 v4, v4, v11
	s_nop 1
	v_mov_b32_dpp v11, v4 row_bcast:31 row_mask:0xf bank_mask:0xf
	v_cndmask_b32_e64 v11, 0, v11, s[20:21]
	v_add_u32_e32 v25, v4, v11
	s_and_saveexec_b64 s[22:23], s[10:11]
; %bb.31:
	ds_write_b32 v10, v25
; %bb.32:
	s_or_b64 exec, exec, s[22:23]
	v_cmp_gt_u32_e64 s[22:23], 2, v0
	v_cmp_eq_u32_e64 s[24:25], 0, v24
	v_add_u32_e32 v11, v19, v23
	s_waitcnt lgkmcnt(0)
	s_barrier
	s_and_saveexec_b64 s[26:27], s[22:23]
	s_cbranch_execz .LBB30_34
; %bb.33:
	ds_read_b32 v4, v11
	s_waitcnt lgkmcnt(0)
	s_nop 0
	v_mov_b32_dpp v12, v4 row_shr:1 row_mask:0xf bank_mask:0xf
	v_cndmask_b32_e64 v12, v12, 0, s[24:25]
	v_add_u32_e32 v4, v12, v4
	ds_write_b32 v11, v4
.LBB30_34:
	s_or_b64 exec, exec, s[26:27]
	v_subrev_co_u32_e64 v24, s[26:27], 1, v21
	v_cmp_lt_u32_e64 s[28:29], 63, v0
	v_add_u32_e32 v12, -4, v10
	v_mov_b32_e32 v4, 0
	v_mov_b32_e32 v23, 0
	s_waitcnt lgkmcnt(0)
	s_barrier
	s_and_saveexec_b64 s[30:31], s[28:29]
; %bb.35:
	ds_read_b32 v23, v12
; %bb.36:
	s_or_b64 exec, exec, s[30:31]
	v_cndmask_b32_e64 v7, 0, v7, s[8:9]
	v_cndmask_b32_e64 v7, v7, v8, s[6:7]
	v_cndmask_b32_e64 v7, v7, v13, s[0:1]
	v_cndmask_b32_e64 v13, 0, v40, s[8:9]
	v_cndmask_b32_e64 v13, v13, v41, s[6:7]
	v_cndmask_b32_e64 v13, v13, v42, s[0:1]
	v_cndmask_b32_e64 v26, v13, v43, s[2:3]
	v_cndmask_b32_e64 v13, 0, v44, s[8:9]
	v_cmp_lt_i32_e32 vcc, v24, v22
	v_cndmask_b32_e64 v7, v7, v14, s[2:3]
	v_cndmask_b32_e64 v14, v13, v45, s[6:7]
	v_cndmask_b32_e32 v13, v24, v21, vcc
	v_lshlrev_b32_e32 v13, 2, v13
	s_waitcnt lgkmcnt(0)
	v_add_u32_e32 v22, v23, v25
	ds_bpermute_b32 v22, v13, v22
	v_cndmask_b32_e64 v8, 0, v35, s[8:9]
	v_cndmask_b32_e64 v8, v8, v36, s[6:7]
	;; [unrolled: 1-line block ×4, first 2 shown]
	s_movk_i32 s0, 0x100
	v_cndmask_b32_e64 v24, v14, v34, s[2:3]
	v_and_or_b32 v14, v20, s0, v21
	s_waitcnt lgkmcnt(0)
	v_cndmask_b32_e64 v20, v22, v23, s[26:27]
	v_cmp_eq_u32_e64 s[0:1], 0, v0
	v_cndmask_b32_e64 v0, v20, 0, s[0:1]
	v_add_u32_e32 v1, v0, v1
	v_add_u32_e32 v2, v1, v2
	;; [unrolled: 1-line block ×3, first 2 shown]
	ds_write2_b64 v19, v[0:1], v[2:3] offset0:1 offset1:2
	s_waitcnt lgkmcnt(0)
	s_barrier
	ds_read_b32 v0, v29 offset:8
	ds_read_b32 v1, v31 offset:8
	;; [unrolled: 1-line block ×4, first 2 shown]
	v_lshlrev_b32_e32 v20, 2, v52
	v_lshlrev_b32_e32 v21, 2, v50
	s_waitcnt lgkmcnt(2)
	v_lshlrev_b32_e32 v1, 2, v1
	s_waitcnt lgkmcnt(1)
	;; [unrolled: 2-line block ×3, first 2 shown]
	v_lshlrev_b32_e32 v3, 2, v3
	v_add3_u32 v20, v20, v21, v3
	v_lshlrev_b32_e32 v3, 2, v48
	v_lshlrev_b32_e32 v21, 2, v46
	v_add3_u32 v21, v3, v21, v2
	v_lshlrev_b32_e32 v2, 2, v32
	;; [unrolled: 3-line block ×3, first 2 shown]
	v_cndmask_b32_e64 v8, v8, v39, s[2:3]
	v_lshlrev_b32_e32 v14, 2, v14
	v_lshl_add_u32 v23, v0, 2, v1
	s_barrier
	ds_write_b32 v23, v6
	ds_write_b32 v22, v5
	;; [unrolled: 1-line block ×4, first 2 shown]
	s_waitcnt lgkmcnt(0)
	s_barrier
	ds_read2st64_b32 v[0:1], v14 offset1:1
	ds_read2st64_b32 v[2:3], v14 offset0:2 offset1:3
	s_waitcnt lgkmcnt(0)
	s_barrier
	ds_write_b32 v23, v7
	ds_write_b32 v22, v8
	;; [unrolled: 1-line block ×4, first 2 shown]
	s_waitcnt lgkmcnt(0)
	s_barrier
	ds_read2st64_b32 v[5:6], v14 offset1:1
	ds_read2st64_b32 v[7:8], v14 offset0:2 offset1:3
	s_mov_b32 s30, 0
	s_mov_b32 s33, 8
	;; [unrolled: 1-line block ×6, first 2 shown]
	s_waitcnt lgkmcnt(0)
	s_barrier
	s_branch .LBB30_38
.LBB30_37:                              ;   in Loop: Header=BB30_38 Depth=1
	s_andn2_b64 vcc, exec, s[2:3]
	s_mov_b32 s33, s7
	s_mov_b32 s36, s6
	s_cbranch_vccz .LBB30_54
.LBB30_38:                              ; =>This Inner Loop Header: Depth=1
	s_cmp_lt_u32 s36, 16
	s_cselect_b64 s[2:3], -1, 0
	s_cmp_gt_u32 s36, 15
	s_cselect_b64 vcc, -1, 0
	s_lshl_b32 s6, -1, s33
	s_not_b32 s38, s6
	s_max_i32 s37, s33, 0
	s_max_i32 s6, s36, 16
	s_add_i32 s39, s6, -16
	s_sub_i32 s6, s6, s37
	s_add_i32 s6, s6, -8
	s_min_i32 s6, s6, 16
	v_mov_b32_e32 v27, v0
	v_mov_b32_e32 v26, v1
	;; [unrolled: 1-line block ×6, first 2 shown]
	s_sub_i32 s6, s6, s39
	v_mov_b32_e32 v1, s31
	v_mov_b32_e32 v3, s35
	s_lshl_b32 s6, -1, s6
	ds_write2_b64 v19, v[0:1], v[2:3] offset0:1 offset1:2
	s_not_b32 s40, s6
	v_lshrrev_b32_sdwa v1, s39, v27 dst_sel:DWORD dst_unused:UNUSED_PAD src0_sel:DWORD src1_sel:WORD_0
	v_lshrrev_b32_sdwa v0, s36, v27 dst_sel:DWORD dst_unused:UNUSED_PAD src0_sel:DWORD src1_sel:WORD_1
	v_and_b32_e32 v1, s40, v1
	v_and_b32_e32 v0, s38, v0
	v_lshlrev_b32_e32 v1, s37, v1
	v_cndmask_b32_e64 v0, 0, v0, s[2:3]
	v_cndmask_b32_e32 v1, 0, v1, vcc
	v_or_b32_e32 v0, v0, v1
	v_and_b32_e32 v1, 1, v0
	v_add_co_u32_e64 v3, s[6:7], -1, v1
	v_mov_b32_e32 v23, v5
	v_addc_co_u32_e64 v5, s[6:7], 0, -1, s[6:7]
	v_cmp_ne_u32_e64 s[6:7], 0, v1
	v_xor_b32_e32 v1, s7, v5
	v_lshlrev_b32_e32 v5, 30, v0
	v_xor_b32_e32 v3, s6, v3
	v_cmp_gt_i64_e64 s[6:7], 0, v[4:5]
	v_not_b32_e32 v5, v5
	v_ashrrev_i32_e32 v5, 31, v5
	v_mov_b32_e32 v22, v6
	v_and_b32_e32 v3, exec_lo, v3
	v_xor_b32_e32 v6, s7, v5
	v_xor_b32_e32 v5, s6, v5
	v_and_b32_e32 v3, v3, v5
	v_lshlrev_b32_e32 v5, 29, v0
	v_cmp_gt_i64_e64 s[6:7], 0, v[4:5]
	v_not_b32_e32 v5, v5
	v_and_b32_e32 v1, exec_hi, v1
	v_ashrrev_i32_e32 v5, 31, v5
	v_and_b32_e32 v1, v1, v6
	v_xor_b32_e32 v6, s7, v5
	v_xor_b32_e32 v5, s6, v5
	v_and_b32_e32 v3, v3, v5
	v_lshlrev_b32_e32 v5, 28, v0
	v_cmp_gt_i64_e64 s[6:7], 0, v[4:5]
	v_not_b32_e32 v5, v5
	v_ashrrev_i32_e32 v5, 31, v5
	v_and_b32_e32 v1, v1, v6
	v_xor_b32_e32 v6, s7, v5
	v_xor_b32_e32 v5, s6, v5
	v_and_b32_e32 v3, v3, v5
	v_lshlrev_b32_e32 v5, 27, v0
	v_cmp_gt_i64_e64 s[6:7], 0, v[4:5]
	v_not_b32_e32 v5, v5
	;; [unrolled: 8-line block ×4, first 2 shown]
	v_ashrrev_i32_e32 v5, 31, v5
	v_and_b32_e32 v1, v1, v6
	v_xor_b32_e32 v6, s7, v5
	v_xor_b32_e32 v5, s6, v5
	v_and_b32_e32 v3, v3, v5
	v_lshlrev_b32_e32 v5, 24, v0
	v_lshlrev_b32_e32 v2, 3, v0
	v_cmp_gt_i64_e64 s[6:7], 0, v[4:5]
	v_not_b32_e32 v0, v5
	v_ashrrev_i32_e32 v0, 31, v0
	v_xor_b32_e32 v5, s7, v0
	v_xor_b32_e32 v0, s6, v0
	v_and_b32_e32 v1, v1, v6
	v_and_b32_e32 v0, v3, v0
	;; [unrolled: 1-line block ×3, first 2 shown]
	v_mbcnt_lo_u32_b32 v3, v0, 0
	v_mbcnt_hi_u32_b32 v6, v1, v3
	v_cmp_ne_u64_e64 s[6:7], 0, v[0:1]
	v_cmp_eq_u32_e64 s[8:9], 0, v6
	v_mov_b32_e32 v20, v8
	v_mov_b32_e32 v21, v7
	s_and_b64 s[8:9], s[8:9], s[6:7]
	v_add_u32_e32 v7, v9, v2
	s_waitcnt lgkmcnt(0)
	s_barrier
	; wave barrier
	s_and_saveexec_b64 s[6:7], s[8:9]
; %bb.39:                               ;   in Loop: Header=BB30_38 Depth=1
	v_bcnt_u32_b32 v0, v0, 0
	v_bcnt_u32_b32 v0, v1, v0
	ds_write_b32 v7, v0 offset:8
; %bb.40:                               ;   in Loop: Header=BB30_38 Depth=1
	s_or_b64 exec, exec, s[6:7]
	v_lshrrev_b32_sdwa v1, s39, v26 dst_sel:DWORD dst_unused:UNUSED_PAD src0_sel:DWORD src1_sel:WORD_0
	v_lshrrev_b32_sdwa v0, s36, v26 dst_sel:DWORD dst_unused:UNUSED_PAD src0_sel:DWORD src1_sel:WORD_1
	v_and_b32_e32 v1, s40, v1
	v_and_b32_e32 v0, s38, v0
	v_lshlrev_b32_e32 v1, s37, v1
	v_cndmask_b32_e64 v0, 0, v0, s[2:3]
	v_cndmask_b32_e32 v1, 0, v1, vcc
	v_or_b32_e32 v0, v0, v1
	v_lshlrev_b32_e32 v1, 3, v0
	v_add_u32_e32 v28, v9, v1
	v_and_b32_e32 v1, 1, v0
	v_add_co_u32_e64 v2, s[6:7], -1, v1
	v_addc_co_u32_e64 v3, s[6:7], 0, -1, s[6:7]
	v_cmp_ne_u32_e64 s[6:7], 0, v1
	v_lshlrev_b32_e32 v5, 30, v0
	v_xor_b32_e32 v1, s7, v3
	v_xor_b32_e32 v2, s6, v2
	v_cmp_gt_i64_e64 s[6:7], 0, v[4:5]
	v_not_b32_e32 v3, v5
	v_ashrrev_i32_e32 v3, 31, v3
	v_and_b32_e32 v1, exec_hi, v1
	v_xor_b32_e32 v5, s7, v3
	v_and_b32_e32 v2, exec_lo, v2
	v_xor_b32_e32 v3, s6, v3
	v_and_b32_e32 v1, v1, v5
	v_lshlrev_b32_e32 v5, 29, v0
	v_and_b32_e32 v2, v2, v3
	v_cmp_gt_i64_e64 s[6:7], 0, v[4:5]
	v_not_b32_e32 v3, v5
	v_ashrrev_i32_e32 v3, 31, v3
	v_xor_b32_e32 v5, s7, v3
	v_xor_b32_e32 v3, s6, v3
	v_and_b32_e32 v1, v1, v5
	v_lshlrev_b32_e32 v5, 28, v0
	v_and_b32_e32 v2, v2, v3
	v_cmp_gt_i64_e64 s[6:7], 0, v[4:5]
	v_not_b32_e32 v3, v5
	v_ashrrev_i32_e32 v3, 31, v3
	v_xor_b32_e32 v5, s7, v3
	;; [unrolled: 8-line block ×5, first 2 shown]
	v_and_b32_e32 v1, v1, v5
	v_lshlrev_b32_e32 v5, 24, v0
	v_xor_b32_e32 v3, s6, v3
	v_cmp_gt_i64_e64 s[6:7], 0, v[4:5]
	v_not_b32_e32 v0, v5
	v_ashrrev_i32_e32 v0, 31, v0
	v_and_b32_e32 v2, v2, v3
	v_xor_b32_e32 v3, s7, v0
	v_xor_b32_e32 v0, s6, v0
	; wave barrier
	ds_read_b32 v8, v28 offset:8
	v_and_b32_e32 v0, v2, v0
	v_and_b32_e32 v1, v1, v3
	v_mbcnt_lo_u32_b32 v2, v0, 0
	v_mbcnt_hi_u32_b32 v29, v1, v2
	v_cmp_ne_u64_e64 s[6:7], 0, v[0:1]
	v_cmp_eq_u32_e64 s[8:9], 0, v29
	s_and_b64 s[8:9], s[8:9], s[6:7]
	; wave barrier
	s_and_saveexec_b64 s[6:7], s[8:9]
	s_cbranch_execz .LBB30_42
; %bb.41:                               ;   in Loop: Header=BB30_38 Depth=1
	v_bcnt_u32_b32 v0, v0, 0
	v_bcnt_u32_b32 v0, v1, v0
	s_waitcnt lgkmcnt(0)
	v_add_u32_e32 v0, v8, v0
	ds_write_b32 v28, v0 offset:8
.LBB30_42:                              ;   in Loop: Header=BB30_38 Depth=1
	s_or_b64 exec, exec, s[6:7]
	v_lshrrev_b32_sdwa v1, s39, v25 dst_sel:DWORD dst_unused:UNUSED_PAD src0_sel:DWORD src1_sel:WORD_0
	v_lshrrev_b32_sdwa v0, s36, v25 dst_sel:DWORD dst_unused:UNUSED_PAD src0_sel:DWORD src1_sel:WORD_1
	v_and_b32_e32 v1, s40, v1
	v_and_b32_e32 v0, s38, v0
	v_lshlrev_b32_e32 v1, s37, v1
	v_cndmask_b32_e64 v0, 0, v0, s[2:3]
	v_cndmask_b32_e32 v1, 0, v1, vcc
	v_or_b32_e32 v0, v0, v1
	v_lshlrev_b32_e32 v1, 3, v0
	v_add_u32_e32 v31, v9, v1
	v_and_b32_e32 v1, 1, v0
	v_add_co_u32_e64 v2, s[6:7], -1, v1
	v_addc_co_u32_e64 v3, s[6:7], 0, -1, s[6:7]
	v_cmp_ne_u32_e64 s[6:7], 0, v1
	v_lshlrev_b32_e32 v5, 30, v0
	v_xor_b32_e32 v1, s7, v3
	v_xor_b32_e32 v2, s6, v2
	v_cmp_gt_i64_e64 s[6:7], 0, v[4:5]
	v_not_b32_e32 v3, v5
	v_ashrrev_i32_e32 v3, 31, v3
	v_and_b32_e32 v1, exec_hi, v1
	v_xor_b32_e32 v5, s7, v3
	v_and_b32_e32 v2, exec_lo, v2
	v_xor_b32_e32 v3, s6, v3
	v_and_b32_e32 v1, v1, v5
	v_lshlrev_b32_e32 v5, 29, v0
	v_and_b32_e32 v2, v2, v3
	v_cmp_gt_i64_e64 s[6:7], 0, v[4:5]
	v_not_b32_e32 v3, v5
	v_ashrrev_i32_e32 v3, 31, v3
	v_xor_b32_e32 v5, s7, v3
	v_xor_b32_e32 v3, s6, v3
	v_and_b32_e32 v1, v1, v5
	v_lshlrev_b32_e32 v5, 28, v0
	v_and_b32_e32 v2, v2, v3
	v_cmp_gt_i64_e64 s[6:7], 0, v[4:5]
	v_not_b32_e32 v3, v5
	v_ashrrev_i32_e32 v3, 31, v3
	v_xor_b32_e32 v5, s7, v3
	;; [unrolled: 8-line block ×5, first 2 shown]
	v_and_b32_e32 v1, v1, v5
	v_lshlrev_b32_e32 v5, 24, v0
	v_xor_b32_e32 v3, s6, v3
	v_cmp_gt_i64_e64 s[6:7], 0, v[4:5]
	v_not_b32_e32 v0, v5
	v_ashrrev_i32_e32 v0, 31, v0
	v_and_b32_e32 v2, v2, v3
	v_xor_b32_e32 v3, s7, v0
	v_xor_b32_e32 v0, s6, v0
	; wave barrier
	ds_read_b32 v30, v31 offset:8
	v_and_b32_e32 v0, v2, v0
	v_and_b32_e32 v1, v1, v3
	v_mbcnt_lo_u32_b32 v2, v0, 0
	v_mbcnt_hi_u32_b32 v32, v1, v2
	v_cmp_ne_u64_e64 s[6:7], 0, v[0:1]
	v_cmp_eq_u32_e64 s[8:9], 0, v32
	s_and_b64 s[8:9], s[8:9], s[6:7]
	; wave barrier
	s_and_saveexec_b64 s[6:7], s[8:9]
	s_cbranch_execz .LBB30_44
; %bb.43:                               ;   in Loop: Header=BB30_38 Depth=1
	v_bcnt_u32_b32 v0, v0, 0
	v_bcnt_u32_b32 v0, v1, v0
	s_waitcnt lgkmcnt(0)
	v_add_u32_e32 v0, v30, v0
	ds_write_b32 v31, v0 offset:8
.LBB30_44:                              ;   in Loop: Header=BB30_38 Depth=1
	s_or_b64 exec, exec, s[6:7]
	v_lshrrev_b32_sdwa v1, s39, v24 dst_sel:DWORD dst_unused:UNUSED_PAD src0_sel:DWORD src1_sel:WORD_0
	v_lshrrev_b32_sdwa v0, s36, v24 dst_sel:DWORD dst_unused:UNUSED_PAD src0_sel:DWORD src1_sel:WORD_1
	v_and_b32_e32 v1, s40, v1
	v_and_b32_e32 v0, s38, v0
	v_lshlrev_b32_e32 v1, s37, v1
	v_cndmask_b32_e64 v0, 0, v0, s[2:3]
	v_cndmask_b32_e32 v1, 0, v1, vcc
	v_or_b32_e32 v0, v0, v1
	v_lshlrev_b32_e32 v1, 3, v0
	v_add_u32_e32 v34, v9, v1
	v_and_b32_e32 v1, 1, v0
	v_add_co_u32_e32 v2, vcc, -1, v1
	v_addc_co_u32_e64 v3, s[2:3], 0, -1, vcc
	v_cmp_ne_u32_e32 vcc, 0, v1
	v_lshlrev_b32_e32 v5, 30, v0
	v_xor_b32_e32 v1, vcc_hi, v3
	v_xor_b32_e32 v2, vcc_lo, v2
	v_cmp_gt_i64_e32 vcc, 0, v[4:5]
	v_not_b32_e32 v3, v5
	v_ashrrev_i32_e32 v3, 31, v3
	v_and_b32_e32 v1, exec_hi, v1
	v_xor_b32_e32 v5, vcc_hi, v3
	v_and_b32_e32 v2, exec_lo, v2
	v_xor_b32_e32 v3, vcc_lo, v3
	v_and_b32_e32 v1, v1, v5
	v_lshlrev_b32_e32 v5, 29, v0
	v_and_b32_e32 v2, v2, v3
	v_cmp_gt_i64_e32 vcc, 0, v[4:5]
	v_not_b32_e32 v3, v5
	v_ashrrev_i32_e32 v3, 31, v3
	v_xor_b32_e32 v5, vcc_hi, v3
	v_xor_b32_e32 v3, vcc_lo, v3
	v_and_b32_e32 v1, v1, v5
	v_lshlrev_b32_e32 v5, 28, v0
	v_and_b32_e32 v2, v2, v3
	v_cmp_gt_i64_e32 vcc, 0, v[4:5]
	v_not_b32_e32 v3, v5
	v_ashrrev_i32_e32 v3, 31, v3
	v_xor_b32_e32 v5, vcc_hi, v3
	;; [unrolled: 8-line block ×5, first 2 shown]
	v_and_b32_e32 v1, v1, v5
	v_lshlrev_b32_e32 v5, 24, v0
	v_xor_b32_e32 v3, vcc_lo, v3
	v_cmp_gt_i64_e32 vcc, 0, v[4:5]
	v_not_b32_e32 v0, v5
	v_ashrrev_i32_e32 v0, 31, v0
	v_and_b32_e32 v2, v2, v3
	v_xor_b32_e32 v3, vcc_hi, v0
	v_xor_b32_e32 v0, vcc_lo, v0
	; wave barrier
	ds_read_b32 v33, v34 offset:8
	v_and_b32_e32 v0, v2, v0
	v_and_b32_e32 v1, v1, v3
	v_mbcnt_lo_u32_b32 v2, v0, 0
	v_mbcnt_hi_u32_b32 v5, v1, v2
	v_cmp_ne_u64_e32 vcc, 0, v[0:1]
	v_cmp_eq_u32_e64 s[2:3], 0, v5
	s_and_b64 s[6:7], s[2:3], vcc
	; wave barrier
	s_and_saveexec_b64 s[2:3], s[6:7]
	s_cbranch_execz .LBB30_46
; %bb.45:                               ;   in Loop: Header=BB30_38 Depth=1
	v_bcnt_u32_b32 v0, v0, 0
	v_bcnt_u32_b32 v0, v1, v0
	s_waitcnt lgkmcnt(0)
	v_add_u32_e32 v0, v33, v0
	ds_write_b32 v34, v0 offset:8
.LBB30_46:                              ;   in Loop: Header=BB30_38 Depth=1
	s_or_b64 exec, exec, s[2:3]
	; wave barrier
	s_waitcnt lgkmcnt(0)
	s_barrier
	ds_read2_b64 v[0:3], v19 offset0:1 offset1:2
	s_waitcnt lgkmcnt(0)
	v_add_u32_e32 v35, v1, v0
	v_add3_u32 v3, v35, v2, v3
	s_nop 1
	v_mov_b32_dpp v35, v3 row_shr:1 row_mask:0xf bank_mask:0xf
	v_cndmask_b32_e64 v35, v35, 0, s[12:13]
	v_add_u32_e32 v3, v35, v3
	s_nop 1
	v_mov_b32_dpp v35, v3 row_shr:2 row_mask:0xf bank_mask:0xf
	v_cndmask_b32_e64 v35, 0, v35, s[14:15]
	v_add_u32_e32 v3, v3, v35
	;; [unrolled: 4-line block ×4, first 2 shown]
	s_nop 1
	v_mov_b32_dpp v35, v3 row_bcast:15 row_mask:0xf bank_mask:0xf
	v_cndmask_b32_e64 v35, v35, 0, s[4:5]
	v_add_u32_e32 v3, v3, v35
	s_nop 1
	v_mov_b32_dpp v35, v3 row_bcast:31 row_mask:0xf bank_mask:0xf
	v_cndmask_b32_e64 v35, 0, v35, s[20:21]
	v_add_u32_e32 v3, v3, v35
	s_and_saveexec_b64 s[2:3], s[10:11]
; %bb.47:                               ;   in Loop: Header=BB30_38 Depth=1
	ds_write_b32 v10, v3
; %bb.48:                               ;   in Loop: Header=BB30_38 Depth=1
	s_or_b64 exec, exec, s[2:3]
	s_waitcnt lgkmcnt(0)
	s_barrier
	s_and_saveexec_b64 s[2:3], s[22:23]
	s_cbranch_execz .LBB30_50
; %bb.49:                               ;   in Loop: Header=BB30_38 Depth=1
	ds_read_b32 v35, v11
	s_waitcnt lgkmcnt(0)
	s_nop 0
	v_mov_b32_dpp v36, v35 row_shr:1 row_mask:0xf bank_mask:0xf
	v_cndmask_b32_e64 v36, v36, 0, s[24:25]
	v_add_u32_e32 v35, v36, v35
	ds_write_b32 v11, v35
.LBB30_50:                              ;   in Loop: Header=BB30_38 Depth=1
	s_or_b64 exec, exec, s[2:3]
	v_mov_b32_e32 v35, 0
	s_waitcnt lgkmcnt(0)
	s_barrier
	s_and_saveexec_b64 s[2:3], s[28:29]
; %bb.51:                               ;   in Loop: Header=BB30_38 Depth=1
	ds_read_b32 v35, v12
; %bb.52:                               ;   in Loop: Header=BB30_38 Depth=1
	s_or_b64 exec, exec, s[2:3]
	s_waitcnt lgkmcnt(0)
	v_add_u32_e32 v3, v35, v3
	ds_bpermute_b32 v3, v13, v3
	v_lshlrev_b32_e32 v6, 2, v6
	s_cmp_gt_u32 s36, 23
	s_mov_b64 s[2:3], -1
	s_waitcnt lgkmcnt(0)
	v_cndmask_b32_e64 v3, v3, v35, s[26:27]
	v_cndmask_b32_e64 v35, v3, 0, s[0:1]
	v_add_u32_e32 v36, v35, v0
	v_add_u32_e32 v0, v36, v1
	;; [unrolled: 1-line block ×3, first 2 shown]
	ds_write2_b64 v19, v[35:36], v[0:1] offset0:1 offset1:2
	s_waitcnt lgkmcnt(0)
	s_barrier
	ds_read_b32 v0, v7 offset:8
	ds_read_b32 v1, v28 offset:8
	;; [unrolled: 1-line block ×4, first 2 shown]
	s_waitcnt lgkmcnt(0)
	v_lshl_add_u32 v28, v0, 2, v6
	v_lshlrev_b32_e32 v0, 2, v29
	v_lshlrev_b32_e32 v6, 2, v8
	v_lshlrev_b32_e32 v1, 2, v1
	v_add3_u32 v29, v0, v6, v1
	v_lshlrev_b32_e32 v0, 2, v32
	v_lshlrev_b32_e32 v1, 2, v30
	v_lshlrev_b32_e32 v2, 2, v2
	v_add3_u32 v30, v0, v1, v2
	;; [unrolled: 4-line block ×3, first 2 shown]
	v_readfirstlane_b32 s6, v0
	v_readfirstlane_b32 s7, v0
                                        ; implicit-def: $vgpr8
                                        ; implicit-def: $vgpr6
                                        ; implicit-def: $vgpr0
                                        ; implicit-def: $vgpr2
	s_cbranch_scc1 .LBB30_37
; %bb.53:                               ;   in Loop: Header=BB30_38 Depth=1
	s_barrier
	ds_write_b32 v28, v27
	ds_write_b32 v29, v26
	;; [unrolled: 1-line block ×4, first 2 shown]
	s_waitcnt lgkmcnt(0)
	s_barrier
	ds_read2st64_b32 v[0:1], v14 offset1:1
	ds_read2st64_b32 v[2:3], v14 offset0:2 offset1:3
	s_waitcnt lgkmcnt(0)
	s_barrier
	ds_write_b32 v28, v23
	ds_write_b32 v29, v22
	ds_write_b32 v30, v21
	ds_write_b32 v31, v20
	s_waitcnt lgkmcnt(0)
	s_barrier
	ds_read2st64_b32 v[5:6], v14 offset1:1
	ds_read2st64_b32 v[7:8], v14 offset0:2 offset1:3
	s_add_i32 s7, s33, -8
	s_add_i32 s6, s36, 8
	s_mov_b64 s[2:3], 0
	s_waitcnt lgkmcnt(0)
	s_barrier
	s_branch .LBB30_37
.LBB30_54:
	s_barrier
	ds_write_b32 v28, v27
	ds_write_b32 v29, v26
	;; [unrolled: 1-line block ×4, first 2 shown]
	s_waitcnt lgkmcnt(0)
	s_barrier
	ds_read2_b64 v[7:10], v19 offset1:1
	s_waitcnt lgkmcnt(0)
	s_barrier
	ds_write_b32 v28, v23
	ds_write_b32 v29, v22
	;; [unrolled: 1-line block ×4, first 2 shown]
	s_waitcnt lgkmcnt(0)
	s_barrier
	ds_read2_b64 v[11:14], v19 offset1:1
.LBB30_55:
	v_xor_b32_e32 v0, 0x80008000, v7
	v_xor_b32_e32 v1, 0x80008000, v8
	;; [unrolled: 1-line block ×3, first 2 shown]
	s_waitcnt vmcnt(0)
	v_xor_b32_e32 v3, 0x80008000, v10
	global_store_dwordx4 v[17:18], v[0:3], off
	s_waitcnt lgkmcnt(0)
	global_store_dwordx4 v[15:16], v[11:14], off
	s_endpgm
	.section	.rodata,"a",@progbits
	.p2align	6, 0x0
	.amdhsa_kernel _Z21sort_key_value_kernelILj128ELj4ELb0ELb0EN10test_utils16custom_test_typeIsEEiEvPT3_PT4_jj
		.amdhsa_group_segment_fixed_size 2064
		.amdhsa_private_segment_fixed_size 0
		.amdhsa_kernarg_size 280
		.amdhsa_user_sgpr_count 6
		.amdhsa_user_sgpr_private_segment_buffer 1
		.amdhsa_user_sgpr_dispatch_ptr 0
		.amdhsa_user_sgpr_queue_ptr 0
		.amdhsa_user_sgpr_kernarg_segment_ptr 1
		.amdhsa_user_sgpr_dispatch_id 0
		.amdhsa_user_sgpr_flat_scratch_init 0
		.amdhsa_user_sgpr_private_segment_size 0
		.amdhsa_uses_dynamic_stack 0
		.amdhsa_system_sgpr_private_segment_wavefront_offset 0
		.amdhsa_system_sgpr_workgroup_id_x 1
		.amdhsa_system_sgpr_workgroup_id_y 0
		.amdhsa_system_sgpr_workgroup_id_z 0
		.amdhsa_system_sgpr_workgroup_info 0
		.amdhsa_system_vgpr_workitem_id 2
		.amdhsa_next_free_vgpr 62
		.amdhsa_next_free_sgpr 61
		.amdhsa_reserve_vcc 1
		.amdhsa_reserve_flat_scratch 0
		.amdhsa_float_round_mode_32 0
		.amdhsa_float_round_mode_16_64 0
		.amdhsa_float_denorm_mode_32 3
		.amdhsa_float_denorm_mode_16_64 3
		.amdhsa_dx10_clamp 1
		.amdhsa_ieee_mode 1
		.amdhsa_fp16_overflow 0
		.amdhsa_exception_fp_ieee_invalid_op 0
		.amdhsa_exception_fp_denorm_src 0
		.amdhsa_exception_fp_ieee_div_zero 0
		.amdhsa_exception_fp_ieee_overflow 0
		.amdhsa_exception_fp_ieee_underflow 0
		.amdhsa_exception_fp_ieee_inexact 0
		.amdhsa_exception_int_div_zero 0
	.end_amdhsa_kernel
	.section	.text._Z21sort_key_value_kernelILj128ELj4ELb0ELb0EN10test_utils16custom_test_typeIsEEiEvPT3_PT4_jj,"axG",@progbits,_Z21sort_key_value_kernelILj128ELj4ELb0ELb0EN10test_utils16custom_test_typeIsEEiEvPT3_PT4_jj,comdat
.Lfunc_end30:
	.size	_Z21sort_key_value_kernelILj128ELj4ELb0ELb0EN10test_utils16custom_test_typeIsEEiEvPT3_PT4_jj, .Lfunc_end30-_Z21sort_key_value_kernelILj128ELj4ELb0ELb0EN10test_utils16custom_test_typeIsEEiEvPT3_PT4_jj
                                        ; -- End function
	.set _Z21sort_key_value_kernelILj128ELj4ELb0ELb0EN10test_utils16custom_test_typeIsEEiEvPT3_PT4_jj.num_vgpr, 62
	.set _Z21sort_key_value_kernelILj128ELj4ELb0ELb0EN10test_utils16custom_test_typeIsEEiEvPT3_PT4_jj.num_agpr, 0
	.set _Z21sort_key_value_kernelILj128ELj4ELb0ELb0EN10test_utils16custom_test_typeIsEEiEvPT3_PT4_jj.numbered_sgpr, 57
	.set _Z21sort_key_value_kernelILj128ELj4ELb0ELb0EN10test_utils16custom_test_typeIsEEiEvPT3_PT4_jj.num_named_barrier, 0
	.set _Z21sort_key_value_kernelILj128ELj4ELb0ELb0EN10test_utils16custom_test_typeIsEEiEvPT3_PT4_jj.private_seg_size, 0
	.set _Z21sort_key_value_kernelILj128ELj4ELb0ELb0EN10test_utils16custom_test_typeIsEEiEvPT3_PT4_jj.uses_vcc, 1
	.set _Z21sort_key_value_kernelILj128ELj4ELb0ELb0EN10test_utils16custom_test_typeIsEEiEvPT3_PT4_jj.uses_flat_scratch, 0
	.set _Z21sort_key_value_kernelILj128ELj4ELb0ELb0EN10test_utils16custom_test_typeIsEEiEvPT3_PT4_jj.has_dyn_sized_stack, 0
	.set _Z21sort_key_value_kernelILj128ELj4ELb0ELb0EN10test_utils16custom_test_typeIsEEiEvPT3_PT4_jj.has_recursion, 0
	.set _Z21sort_key_value_kernelILj128ELj4ELb0ELb0EN10test_utils16custom_test_typeIsEEiEvPT3_PT4_jj.has_indirect_call, 0
	.section	.AMDGPU.csdata,"",@progbits
; Kernel info:
; codeLenInByte = 9532
; TotalNumSgprs: 61
; NumVgprs: 62
; ScratchSize: 0
; MemoryBound: 0
; FloatMode: 240
; IeeeMode: 1
; LDSByteSize: 2064 bytes/workgroup (compile time only)
; SGPRBlocks: 8
; VGPRBlocks: 15
; NumSGPRsForWavesPerEU: 65
; NumVGPRsForWavesPerEU: 62
; Occupancy: 4
; WaveLimiterHint : 0
; COMPUTE_PGM_RSRC2:SCRATCH_EN: 0
; COMPUTE_PGM_RSRC2:USER_SGPR: 6
; COMPUTE_PGM_RSRC2:TRAP_HANDLER: 0
; COMPUTE_PGM_RSRC2:TGID_X_EN: 1
; COMPUTE_PGM_RSRC2:TGID_Y_EN: 0
; COMPUTE_PGM_RSRC2:TGID_Z_EN: 0
; COMPUTE_PGM_RSRC2:TIDIG_COMP_CNT: 2
	.section	.text._Z21sort_key_value_kernelILj60ELj1ELb0ELb1EtdEvPT3_PT4_jj,"axG",@progbits,_Z21sort_key_value_kernelILj60ELj1ELb0ELb1EtdEvPT3_PT4_jj,comdat
	.protected	_Z21sort_key_value_kernelILj60ELj1ELb0ELb1EtdEvPT3_PT4_jj ; -- Begin function _Z21sort_key_value_kernelILj60ELj1ELb0ELb1EtdEvPT3_PT4_jj
	.globl	_Z21sort_key_value_kernelILj60ELj1ELb0ELb1EtdEvPT3_PT4_jj
	.p2align	8
	.type	_Z21sort_key_value_kernelILj60ELj1ELb0ELb1EtdEvPT3_PT4_jj,@function
_Z21sort_key_value_kernelILj60ELj1ELb0ELb1EtdEvPT3_PT4_jj: ; @_Z21sort_key_value_kernelILj60ELj1ELb0ELb1EtdEvPT3_PT4_jj
; %bb.0:
	s_load_dwordx4 s[0:3], s[4:5], 0x0
	s_load_dwordx2 s[38:39], s[4:5], 0x10
	s_mul_i32 s4, s6, 60
	s_mov_b32 s5, 0
	s_lshl_b64 s[6:7], s[4:5], 1
	s_waitcnt lgkmcnt(0)
	s_add_u32 s34, s0, s6
	s_addc_u32 s35, s1, s7
	s_lshl_b64 s[0:1], s[4:5], 3
	v_lshlrev_b32_e32 v11, 1, v0
	s_add_u32 s36, s2, s0
	global_load_ushort v1, v11, s[34:35]
	s_addc_u32 s37, s3, s1
	v_lshlrev_b32_e32 v12, 3, v0
	global_load_dwordx2 v[13:14], v12, s[36:37]
	v_mbcnt_lo_u32_b32 v2, -1, 0
	s_movk_i32 s0, 0x1e0
	v_mbcnt_hi_u32_b32 v2, -1, v2
	s_cmp_eq_u32 s38, 0
	v_cmp_gt_u32_e64 s[16:17], s0, v0
	v_subrev_co_u32_e64 v5, s[0:1], 1, v2
	v_and_b32_e32 v6, 64, v2
	s_cselect_b64 s[18:19], -1, 0
	s_cmp_eq_u32 s39, 16
	s_movk_i32 s6, 0xffe2
	v_lshlrev_b32_e32 v17, 5, v0
	v_cmp_lt_i32_e32 vcc, v5, v6
	s_cselect_b64 s[20:21], -1, 0
	v_and_b32_e32 v3, 15, v2
	v_and_b32_e32 v4, 16, v2
	v_cmp_lt_u32_e64 s[4:5], 31, v2
	v_mad_i32_i24 v16, v0, s6, v17
	v_cndmask_b32_e32 v2, v5, v2, vcc
	s_and_b64 s[18:19], s[18:19], s[20:21]
	v_mov_b32_e32 v21, 0
	v_cmp_eq_u32_e64 s[2:3], 59, v0
	v_lshlrev_b32_e32 v19, 2, v0
	v_cmp_eq_u32_e64 s[14:15], 0, v3
	v_cmp_lt_u32_e64 s[12:13], 1, v3
	v_cmp_lt_u32_e64 s[10:11], 3, v3
	;; [unrolled: 1-line block ×3, first 2 shown]
	v_cmp_eq_u32_e64 s[6:7], 0, v4
	v_mad_u32_u24 v15, v0, 6, v16
	v_lshlrev_b32_e32 v18, 2, v2
	v_mov_b32_e32 v23, s35
	v_mov_b32_e32 v22, s37
	s_and_b64 vcc, exec, s[18:19]
	s_waitcnt vmcnt(1)
	v_xor_b32_e32 v20, -1, v1
	s_cbranch_vccnz .LBB31_16
; %bb.1:
	s_movk_i32 s18, 0x1a4
	s_movk_i32 s20, 0x168
	s_movk_i32 s22, 0x12c
	s_movk_i32 s24, 0xf0
	s_movk_i32 s26, 0xb4
	s_movk_i32 s28, 0x78
	s_waitcnt vmcnt(0)
	v_mov_b32_e32 v1, v13
	v_cmp_gt_u32_e64 s[18:19], s18, v0
	v_cmp_gt_u32_e64 s[20:21], s20, v0
	;; [unrolled: 1-line block ×7, first 2 shown]
	s_sub_i32 s33, s39, s38
	v_mov_b32_e32 v2, v14
	v_mov_b32_e32 v5, v20
	s_branch .LBB31_3
.LBB31_2:                               ;   in Loop: Header=BB31_3 Depth=1
	s_andn2_b64 vcc, exec, s[40:41]
	s_cbranch_vccz .LBB31_17
.LBB31_3:                               ; =>This Inner Loop Header: Depth=1
	v_mov_b32_e32 v10, v2
	v_mov_b32_e32 v24, v5
	;; [unrolled: 1-line block ×3, first 2 shown]
	s_and_saveexec_b64 s[40:41], s[16:17]
	s_cbranch_execz .LBB31_12
; %bb.4:                                ;   in Loop: Header=BB31_3 Depth=1
	ds_write_b32 v19, v21
	s_and_b64 exec, exec, s[18:19]
	s_cbranch_execz .LBB31_12
; %bb.5:                                ;   in Loop: Header=BB31_3 Depth=1
	ds_write_b32 v19, v21 offset:240
	s_and_b64 exec, exec, s[20:21]
	s_cbranch_execz .LBB31_12
; %bb.6:                                ;   in Loop: Header=BB31_3 Depth=1
	ds_write_b32 v19, v21 offset:480
	s_and_b64 exec, exec, s[22:23]
	s_cbranch_execz .LBB31_12
; %bb.7:                                ;   in Loop: Header=BB31_3 Depth=1
	ds_write_b32 v19, v21 offset:720
	s_and_b64 exec, exec, s[24:25]
	s_cbranch_execz .LBB31_12
; %bb.8:                                ;   in Loop: Header=BB31_3 Depth=1
	ds_write_b32 v19, v21 offset:960
	s_and_b64 exec, exec, s[26:27]
	s_cbranch_execz .LBB31_12
; %bb.9:                                ;   in Loop: Header=BB31_3 Depth=1
	ds_write_b32 v19, v21 offset:1200
	s_and_b64 exec, exec, s[28:29]
	s_cbranch_execz .LBB31_12
; %bb.10:                               ;   in Loop: Header=BB31_3 Depth=1
	ds_write_b32 v19, v21 offset:1440
	s_and_b64 exec, exec, s[30:31]
; %bb.11:                               ;   in Loop: Header=BB31_3 Depth=1
	ds_write_b32 v19, v21 offset:1680
.LBB31_12:                              ;   in Loop: Header=BB31_3 Depth=1
	s_or_b64 exec, exec, s[40:41]
	s_min_u32 s35, s33, 4
	v_lshrrev_b32_sdwa v1, s38, v24 dst_sel:DWORD dst_unused:UNUSED_PAD src0_sel:DWORD src1_sel:WORD_0
	v_bfe_u32 v1, v1, 0, s35
	v_and_b32_e32 v2, 7, v1
	v_lshrrev_b32_e32 v1, 2, v1
	v_mad_u32_u24 v2, v2, 60, v0
	v_and_b32_e32 v1, 30, v1
	v_lshl_add_u32 v26, v2, 2, v1
	ds_read_u16 v25, v26
	s_waitcnt lgkmcnt(0)
	v_add_u16_e32 v1, 1, v25
	ds_write_b16 v26, v1
	s_waitcnt lgkmcnt(0)
	; wave barrier
	ds_read2_b64 v[5:8], v17 offset1:1
	ds_read2_b64 v[1:4], v17 offset0:2 offset1:3
	s_waitcnt lgkmcnt(1)
	v_add_u32_e32 v27, v6, v5
	v_add3_u32 v27, v27, v7, v8
	s_waitcnt lgkmcnt(0)
	v_add3_u32 v27, v27, v1, v2
	v_add3_u32 v4, v27, v3, v4
	s_nop 1
	v_mov_b32_dpp v27, v4 row_shr:1 row_mask:0xf bank_mask:0xf
	v_cndmask_b32_e64 v27, v27, 0, s[14:15]
	v_add_u32_e32 v4, v27, v4
	s_nop 1
	v_mov_b32_dpp v27, v4 row_shr:2 row_mask:0xf bank_mask:0xf
	v_cndmask_b32_e64 v27, 0, v27, s[12:13]
	v_add_u32_e32 v4, v4, v27
	;; [unrolled: 4-line block ×4, first 2 shown]
	s_nop 1
	v_mov_b32_dpp v27, v4 row_bcast:15 row_mask:0xf bank_mask:0xf
	v_cndmask_b32_e64 v27, v27, 0, s[6:7]
	v_add_u32_e32 v4, v4, v27
	s_nop 1
	v_mov_b32_dpp v27, v4 row_bcast:31 row_mask:0xf bank_mask:0xf
	v_cndmask_b32_e64 v27, 0, v27, s[4:5]
	v_add_u32_e32 v4, v4, v27
	s_and_saveexec_b64 s[40:41], s[2:3]
; %bb.13:                               ;   in Loop: Header=BB31_3 Depth=1
	ds_write_b32 v21, v4 offset:1920
; %bb.14:                               ;   in Loop: Header=BB31_3 Depth=1
	s_or_b64 exec, exec, s[40:41]
	ds_bpermute_b32 v4, v18, v4
	s_waitcnt lgkmcnt(0)
	; wave barrier
	ds_read_b32 v27, v21 offset:1920
	s_add_i32 s38, s38, 4
	v_cndmask_b32_e64 v4, v4, 0, s[0:1]
	s_cmp_ge_u32 s38, s39
	s_mov_b64 s[40:41], -1
	s_waitcnt lgkmcnt(0)
	v_lshl_add_u32 v4, v27, 16, v4
	v_add_u32_e32 v5, v4, v5
	v_add_u32_e32 v6, v5, v6
	;; [unrolled: 1-line block ×7, first 2 shown]
	ds_write2_b64 v17, v[4:5], v[6:7] offset1:1
	ds_write2_b64 v17, v[27:28], v[1:2] offset0:2 offset1:3
	s_waitcnt lgkmcnt(0)
	; wave barrier
	ds_read_u16 v1, v26
	s_waitcnt lgkmcnt(0)
                                        ; implicit-def: $vgpr5
	v_add_u32_sdwa v1, v1, v25 dst_sel:DWORD dst_unused:UNUSED_PAD src0_sel:DWORD src1_sel:WORD_0
	v_lshlrev_b32_e32 v3, 1, v1
	v_mul_u32_u24_e32 v4, 6, v1
                                        ; implicit-def: $vgpr1_vgpr2
	s_cbranch_scc1 .LBB31_2
; %bb.15:                               ;   in Loop: Header=BB31_3 Depth=1
	v_add_u32_e32 v1, v3, v4
	; wave barrier
	ds_write_b16 v3, v24
	s_waitcnt lgkmcnt(0)
	; wave barrier
	ds_read_u16 v5, v16
	s_waitcnt lgkmcnt(0)
	; wave barrier
	ds_write_b64 v1, v[9:10]
	s_waitcnt lgkmcnt(0)
	; wave barrier
	ds_read_b64 v[1:2], v15
	s_add_i32 s33, s33, -4
	s_mov_b64 s[40:41], 0
	s_waitcnt lgkmcnt(0)
	; wave barrier
	s_branch .LBB31_2
.LBB31_16:
	s_mov_b64 s[18:19], -1
                                        ; implicit-def: $vgpr1
	s_branch .LBB31_18
.LBB31_17:
	; wave barrier
	ds_write_b16 v3, v24
	s_waitcnt lgkmcnt(0)
	; wave barrier
	ds_read_u16 v1, v16
	v_add_u32_e32 v2, v3, v4
	s_mov_b64 s[18:19], 0
	s_waitcnt lgkmcnt(0)
	; wave barrier
	ds_write_b64 v2, v[9:10]
	s_waitcnt lgkmcnt(0)
	; wave barrier
.LBB31_18:
	v_add_co_u32_e32 v9, vcc, s34, v11
	v_addc_co_u32_e32 v10, vcc, 0, v23, vcc
	v_add_co_u32_e32 v11, vcc, s36, v12
	v_addc_co_u32_e32 v12, vcc, 0, v22, vcc
	s_and_b64 vcc, exec, s[18:19]
	s_cbranch_vccz .LBB31_64
; %bb.19:
	s_and_saveexec_b64 s[18:19], s[16:17]
	s_cbranch_execz .LBB31_28
; %bb.20:
	s_movk_i32 s20, 0x1a4
	v_mov_b32_e32 v2, 0
	v_sub_u32_e32 v1, v15, v19
	v_cmp_gt_u32_e32 vcc, s20, v0
	ds_write_b32 v1, v2
	s_and_b64 exec, exec, vcc
	s_cbranch_execz .LBB31_28
; %bb.21:
	v_sub_u32_e32 v1, 0, v19
	s_movk_i32 s20, 0x168
	v_add_u32_e32 v1, v15, v1
	v_cmp_gt_u32_e32 vcc, s20, v0
	ds_write_b32 v1, v2 offset:240
	s_and_b64 exec, exec, vcc
	s_cbranch_execz .LBB31_28
; %bb.22:
	s_movk_i32 s20, 0x12c
	v_mov_b32_e32 v2, 0
	v_cmp_gt_u32_e32 vcc, s20, v0
	ds_write_b32 v1, v2 offset:480
	s_and_b64 exec, exec, vcc
	s_cbranch_execz .LBB31_28
; %bb.23:
	s_movk_i32 s20, 0xf0
	v_cmp_gt_u32_e32 vcc, s20, v0
	ds_write_b32 v1, v2 offset:720
	s_and_b64 exec, exec, vcc
	s_cbranch_execz .LBB31_28
; %bb.24:
	s_movk_i32 s20, 0xb4
	v_mov_b32_e32 v2, 0
	v_cmp_gt_u32_e32 vcc, s20, v0
	ds_write_b32 v1, v2 offset:960
	s_and_b64 exec, exec, vcc
	s_cbranch_execz .LBB31_28
; %bb.25:
	s_movk_i32 s20, 0x78
	v_cmp_gt_u32_e32 vcc, s20, v0
	ds_write_b32 v1, v2 offset:1200
	s_and_b64 exec, exec, vcc
	s_cbranch_execz .LBB31_28
; %bb.26:
	v_mov_b32_e32 v2, 0
	v_cmp_gt_u32_e32 vcc, 60, v0
	ds_write_b32 v1, v2 offset:1440
	s_and_b64 exec, exec, vcc
; %bb.27:
	ds_write_b32 v1, v2 offset:1680
.LBB31_28:
	s_or_b64 exec, exec, s[18:19]
	v_mov_b32_e32 v1, 7
	v_mov_b32_e32 v2, 2
	v_and_b32_sdwa v1, v20, v1 dst_sel:DWORD dst_unused:UNUSED_PAD src0_sel:WORD_0 src1_sel:DWORD
	v_lshrrev_b32_sdwa v2, v2, v20 dst_sel:DWORD dst_unused:UNUSED_PAD src0_sel:DWORD src1_sel:WORD_0
	v_mad_u32_u24 v1, v1, 60, v0
	v_and_b32_e32 v2, 2, v2
	v_lshl_or_b32 v21, v1, 2, v2
	ds_read_u16 v22, v21
	s_waitcnt lgkmcnt(0)
	v_add_u16_e32 v1, 1, v22
	ds_write_b16 v21, v1
	s_waitcnt lgkmcnt(0)
	; wave barrier
	ds_read2_b64 v[5:8], v17 offset1:1
	ds_read2_b64 v[1:4], v17 offset0:2 offset1:3
	s_waitcnt lgkmcnt(1)
	v_add_u32_e32 v23, v6, v5
	v_add3_u32 v23, v23, v7, v8
	s_waitcnt lgkmcnt(0)
	v_add3_u32 v23, v23, v1, v2
	v_add3_u32 v4, v23, v3, v4
	s_nop 1
	v_mov_b32_dpp v23, v4 row_shr:1 row_mask:0xf bank_mask:0xf
	v_cndmask_b32_e64 v23, v23, 0, s[14:15]
	v_add_u32_e32 v4, v23, v4
	s_nop 1
	v_mov_b32_dpp v23, v4 row_shr:2 row_mask:0xf bank_mask:0xf
	v_cndmask_b32_e64 v23, 0, v23, s[12:13]
	v_add_u32_e32 v4, v4, v23
	;; [unrolled: 4-line block ×4, first 2 shown]
	s_nop 1
	v_mov_b32_dpp v23, v4 row_bcast:15 row_mask:0xf bank_mask:0xf
	v_cndmask_b32_e64 v23, v23, 0, s[6:7]
	v_add_u32_e32 v4, v4, v23
	s_nop 1
	v_mov_b32_dpp v23, v4 row_bcast:31 row_mask:0xf bank_mask:0xf
	v_cndmask_b32_e64 v23, 0, v23, s[4:5]
	v_add_u32_e32 v4, v4, v23
	s_and_saveexec_b64 s[18:19], s[2:3]
; %bb.29:
	v_mov_b32_e32 v23, 0
	ds_write_b32 v23, v4 offset:1920
; %bb.30:
	s_or_b64 exec, exec, s[18:19]
	ds_bpermute_b32 v23, v18, v4
	v_mov_b32_e32 v4, 0
	s_waitcnt lgkmcnt(0)
	; wave barrier
	ds_read_b32 v24, v4 offset:1920
	v_cndmask_b32_e64 v23, v23, 0, s[0:1]
	s_waitcnt lgkmcnt(0)
	v_lshl_add_u32 v23, v24, 16, v23
	v_add_u32_e32 v24, v23, v5
	v_add_u32_e32 v5, v24, v6
	;; [unrolled: 1-line block ×7, first 2 shown]
	ds_write2_b64 v17, v[23:24], v[5:6] offset1:1
	ds_write2_b64 v17, v[7:8], v[1:2] offset0:2 offset1:3
	s_waitcnt lgkmcnt(0)
	; wave barrier
	ds_read_u16 v1, v21
	s_waitcnt lgkmcnt(0)
	; wave barrier
	v_add_u32_sdwa v1, v1, v22 dst_sel:DWORD dst_unused:UNUSED_PAD src0_sel:DWORD src1_sel:WORD_0
	v_lshlrev_b32_e32 v2, 1, v1
	v_mad_u32_u24 v1, v1, 6, v2
	ds_write_b16 v2, v20
	s_waitcnt lgkmcnt(0)
	; wave barrier
	ds_read_u16 v20, v16
	s_waitcnt vmcnt(0) lgkmcnt(0)
	; wave barrier
	ds_write_b64 v1, v[13:14]
	s_waitcnt lgkmcnt(0)
	; wave barrier
	ds_read_b64 v[13:14], v15
	s_waitcnt lgkmcnt(0)
	; wave barrier
	s_and_saveexec_b64 s[18:19], s[16:17]
	s_cbranch_execz .LBB31_39
; %bb.31:
	s_movk_i32 s20, 0x1a4
	v_cmp_gt_u32_e32 vcc, s20, v0
	ds_write_b32 v19, v4
	s_and_b64 exec, exec, vcc
	s_cbranch_execz .LBB31_39
; %bb.32:
	s_movk_i32 s20, 0x168
	v_mov_b32_e32 v1, 0
	v_cmp_gt_u32_e32 vcc, s20, v0
	ds_write_b32 v19, v1 offset:240
	s_and_b64 exec, exec, vcc
	s_cbranch_execz .LBB31_39
; %bb.33:
	s_movk_i32 s20, 0x12c
	v_cmp_gt_u32_e32 vcc, s20, v0
	ds_write_b32 v19, v1 offset:480
	s_and_b64 exec, exec, vcc
	s_cbranch_execz .LBB31_39
; %bb.34:
	s_movk_i32 s20, 0xf0
	v_mov_b32_e32 v1, 0
	v_cmp_gt_u32_e32 vcc, s20, v0
	ds_write_b32 v19, v1 offset:720
	s_and_b64 exec, exec, vcc
	s_cbranch_execz .LBB31_39
; %bb.35:
	s_movk_i32 s20, 0xb4
	v_cmp_gt_u32_e32 vcc, s20, v0
	ds_write_b32 v19, v1 offset:960
	s_and_b64 exec, exec, vcc
	s_cbranch_execz .LBB31_39
; %bb.36:
	s_movk_i32 s20, 0x78
	v_mov_b32_e32 v1, 0
	v_cmp_gt_u32_e32 vcc, s20, v0
	ds_write_b32 v19, v1 offset:1200
	s_and_b64 exec, exec, vcc
	s_cbranch_execz .LBB31_39
; %bb.37:
	v_cmp_gt_u32_e32 vcc, 60, v0
	ds_write_b32 v19, v1 offset:1440
	s_and_b64 exec, exec, vcc
; %bb.38:
	v_mov_b32_e32 v1, 0
	ds_write_b32 v19, v1 offset:1680
.LBB31_39:
	s_or_b64 exec, exec, s[18:19]
	v_lshrrev_b16_e32 v1, 4, v20
	v_and_b32_e32 v2, 7, v1
	v_lshrrev_b32_e32 v1, 2, v1
	v_mad_u32_u24 v2, v2, 60, v0
	v_and_b32_e32 v1, 2, v1
	v_lshl_or_b32 v21, v2, 2, v1
	ds_read_u16 v22, v21
	s_waitcnt lgkmcnt(0)
	v_add_u16_e32 v1, 1, v22
	ds_write_b16 v21, v1
	s_waitcnt lgkmcnt(0)
	; wave barrier
	ds_read2_b64 v[5:8], v17 offset1:1
	ds_read2_b64 v[1:4], v17 offset0:2 offset1:3
	s_waitcnt lgkmcnt(1)
	v_add_u32_e32 v23, v6, v5
	v_add3_u32 v23, v23, v7, v8
	s_waitcnt lgkmcnt(0)
	v_add3_u32 v23, v23, v1, v2
	v_add3_u32 v4, v23, v3, v4
	s_nop 1
	v_mov_b32_dpp v23, v4 row_shr:1 row_mask:0xf bank_mask:0xf
	v_cndmask_b32_e64 v23, v23, 0, s[14:15]
	v_add_u32_e32 v4, v23, v4
	s_nop 1
	v_mov_b32_dpp v23, v4 row_shr:2 row_mask:0xf bank_mask:0xf
	v_cndmask_b32_e64 v23, 0, v23, s[12:13]
	v_add_u32_e32 v4, v4, v23
	;; [unrolled: 4-line block ×4, first 2 shown]
	s_nop 1
	v_mov_b32_dpp v23, v4 row_bcast:15 row_mask:0xf bank_mask:0xf
	v_cndmask_b32_e64 v23, v23, 0, s[6:7]
	v_add_u32_e32 v4, v4, v23
	s_nop 1
	v_mov_b32_dpp v23, v4 row_bcast:31 row_mask:0xf bank_mask:0xf
	v_cndmask_b32_e64 v23, 0, v23, s[4:5]
	v_add_u32_e32 v4, v4, v23
	s_and_saveexec_b64 s[18:19], s[2:3]
; %bb.40:
	v_mov_b32_e32 v23, 0
	ds_write_b32 v23, v4 offset:1920
; %bb.41:
	s_or_b64 exec, exec, s[18:19]
	ds_bpermute_b32 v23, v18, v4
	v_mov_b32_e32 v4, 0
	s_waitcnt lgkmcnt(0)
	; wave barrier
	ds_read_b32 v24, v4 offset:1920
	v_cndmask_b32_e64 v23, v23, 0, s[0:1]
	s_waitcnt lgkmcnt(0)
	v_lshl_add_u32 v23, v24, 16, v23
	v_add_u32_e32 v24, v23, v5
	v_add_u32_e32 v5, v24, v6
	;; [unrolled: 1-line block ×7, first 2 shown]
	ds_write2_b64 v17, v[23:24], v[5:6] offset1:1
	ds_write2_b64 v17, v[7:8], v[1:2] offset0:2 offset1:3
	s_waitcnt lgkmcnt(0)
	; wave barrier
	ds_read_u16 v1, v21
	s_waitcnt lgkmcnt(0)
	; wave barrier
	v_add_u32_sdwa v1, v1, v22 dst_sel:DWORD dst_unused:UNUSED_PAD src0_sel:DWORD src1_sel:WORD_0
	v_lshlrev_b32_e32 v2, 1, v1
	v_mad_u32_u24 v1, v1, 6, v2
	ds_write_b16 v2, v20
	s_waitcnt lgkmcnt(0)
	; wave barrier
	ds_read_u16 v20, v16
	s_waitcnt lgkmcnt(0)
	; wave barrier
	ds_write_b64 v1, v[13:14]
	s_waitcnt lgkmcnt(0)
	; wave barrier
	ds_read_b64 v[13:14], v15
	s_waitcnt lgkmcnt(0)
	; wave barrier
	s_and_saveexec_b64 s[18:19], s[16:17]
	s_cbranch_execz .LBB31_50
; %bb.42:
	s_movk_i32 s20, 0x1a4
	v_cmp_gt_u32_e32 vcc, s20, v0
	ds_write_b32 v19, v4
	s_and_b64 exec, exec, vcc
	s_cbranch_execz .LBB31_50
; %bb.43:
	s_movk_i32 s20, 0x168
	v_mov_b32_e32 v1, 0
	v_cmp_gt_u32_e32 vcc, s20, v0
	ds_write_b32 v19, v1 offset:240
	s_and_b64 exec, exec, vcc
	s_cbranch_execz .LBB31_50
; %bb.44:
	s_movk_i32 s20, 0x12c
	v_cmp_gt_u32_e32 vcc, s20, v0
	ds_write_b32 v19, v1 offset:480
	s_and_b64 exec, exec, vcc
	s_cbranch_execz .LBB31_50
; %bb.45:
	s_movk_i32 s20, 0xf0
	v_mov_b32_e32 v1, 0
	v_cmp_gt_u32_e32 vcc, s20, v0
	ds_write_b32 v19, v1 offset:720
	s_and_b64 exec, exec, vcc
	s_cbranch_execz .LBB31_50
; %bb.46:
	s_movk_i32 s20, 0xb4
	v_cmp_gt_u32_e32 vcc, s20, v0
	ds_write_b32 v19, v1 offset:960
	s_and_b64 exec, exec, vcc
	s_cbranch_execz .LBB31_50
; %bb.47:
	s_movk_i32 s20, 0x78
	v_mov_b32_e32 v1, 0
	v_cmp_gt_u32_e32 vcc, s20, v0
	ds_write_b32 v19, v1 offset:1200
	s_and_b64 exec, exec, vcc
	s_cbranch_execz .LBB31_50
; %bb.48:
	v_cmp_gt_u32_e32 vcc, 60, v0
	ds_write_b32 v19, v1 offset:1440
	s_and_b64 exec, exec, vcc
; %bb.49:
	v_mov_b32_e32 v1, 0
	ds_write_b32 v19, v1 offset:1680
.LBB31_50:
	s_or_b64 exec, exec, s[18:19]
	v_mov_b32_e32 v1, 7
	v_mov_b32_e32 v2, 2
	v_and_b32_sdwa v1, v20, v1 dst_sel:DWORD dst_unused:UNUSED_PAD src0_sel:BYTE_1 src1_sel:DWORD
	v_lshrrev_b32_sdwa v2, v2, v20 dst_sel:DWORD dst_unused:UNUSED_PAD src0_sel:DWORD src1_sel:BYTE_1
	v_mad_u32_u24 v1, v1, 60, v0
	v_and_b32_e32 v2, 2, v2
	v_lshl_or_b32 v21, v1, 2, v2
	ds_read_u16 v22, v21
	s_waitcnt lgkmcnt(0)
	v_add_u16_e32 v1, 1, v22
	ds_write_b16 v21, v1
	s_waitcnt lgkmcnt(0)
	; wave barrier
	ds_read2_b64 v[5:8], v17 offset1:1
	ds_read2_b64 v[1:4], v17 offset0:2 offset1:3
	s_waitcnt lgkmcnt(1)
	v_add_u32_e32 v23, v6, v5
	v_add3_u32 v23, v23, v7, v8
	s_waitcnt lgkmcnt(0)
	v_add3_u32 v23, v23, v1, v2
	v_add3_u32 v4, v23, v3, v4
	s_nop 1
	v_mov_b32_dpp v23, v4 row_shr:1 row_mask:0xf bank_mask:0xf
	v_cndmask_b32_e64 v23, v23, 0, s[14:15]
	v_add_u32_e32 v4, v23, v4
	s_nop 1
	v_mov_b32_dpp v23, v4 row_shr:2 row_mask:0xf bank_mask:0xf
	v_cndmask_b32_e64 v23, 0, v23, s[12:13]
	v_add_u32_e32 v4, v4, v23
	;; [unrolled: 4-line block ×4, first 2 shown]
	s_nop 1
	v_mov_b32_dpp v23, v4 row_bcast:15 row_mask:0xf bank_mask:0xf
	v_cndmask_b32_e64 v23, v23, 0, s[6:7]
	v_add_u32_e32 v4, v4, v23
	s_nop 1
	v_mov_b32_dpp v23, v4 row_bcast:31 row_mask:0xf bank_mask:0xf
	v_cndmask_b32_e64 v23, 0, v23, s[4:5]
	v_add_u32_e32 v4, v4, v23
	s_and_saveexec_b64 s[18:19], s[2:3]
; %bb.51:
	v_mov_b32_e32 v23, 0
	ds_write_b32 v23, v4 offset:1920
; %bb.52:
	s_or_b64 exec, exec, s[18:19]
	ds_bpermute_b32 v23, v18, v4
	v_mov_b32_e32 v4, 0
	s_waitcnt lgkmcnt(0)
	; wave barrier
	ds_read_b32 v24, v4 offset:1920
	v_cndmask_b32_e64 v23, v23, 0, s[0:1]
	s_waitcnt lgkmcnt(0)
	v_lshl_add_u32 v23, v24, 16, v23
	v_add_u32_e32 v24, v23, v5
	v_add_u32_e32 v5, v24, v6
	;; [unrolled: 1-line block ×7, first 2 shown]
	ds_write2_b64 v17, v[23:24], v[5:6] offset1:1
	ds_write2_b64 v17, v[7:8], v[1:2] offset0:2 offset1:3
	s_waitcnt lgkmcnt(0)
	; wave barrier
	ds_read_u16 v1, v21
	s_waitcnt lgkmcnt(0)
	; wave barrier
	v_add_u32_sdwa v1, v1, v22 dst_sel:DWORD dst_unused:UNUSED_PAD src0_sel:DWORD src1_sel:WORD_0
	v_lshlrev_b32_e32 v2, 1, v1
	v_mad_u32_u24 v1, v1, 6, v2
	ds_write_b16 v2, v20
	s_waitcnt lgkmcnt(0)
	; wave barrier
	ds_read_u16 v8, v16
	s_waitcnt lgkmcnt(0)
	; wave barrier
	ds_write_b64 v1, v[13:14]
	s_waitcnt lgkmcnt(0)
	; wave barrier
	ds_read_b64 v[13:14], v15
	s_waitcnt lgkmcnt(0)
	; wave barrier
	s_and_saveexec_b64 s[18:19], s[16:17]
	s_cbranch_execz .LBB31_61
; %bb.53:
	s_movk_i32 s16, 0x1a4
	v_cmp_gt_u32_e32 vcc, s16, v0
	ds_write_b32 v19, v4
	s_and_b64 exec, exec, vcc
	s_cbranch_execz .LBB31_61
; %bb.54:
	s_movk_i32 s16, 0x168
	v_mov_b32_e32 v1, 0
	v_cmp_gt_u32_e32 vcc, s16, v0
	ds_write_b32 v19, v1 offset:240
	s_and_b64 exec, exec, vcc
	s_cbranch_execz .LBB31_61
; %bb.55:
	s_movk_i32 s16, 0x12c
	v_cmp_gt_u32_e32 vcc, s16, v0
	ds_write_b32 v19, v1 offset:480
	s_and_b64 exec, exec, vcc
	s_cbranch_execz .LBB31_61
; %bb.56:
	s_movk_i32 s16, 0xf0
	v_mov_b32_e32 v1, 0
	v_cmp_gt_u32_e32 vcc, s16, v0
	ds_write_b32 v19, v1 offset:720
	s_and_b64 exec, exec, vcc
	s_cbranch_execz .LBB31_61
; %bb.57:
	s_movk_i32 s16, 0xb4
	v_cmp_gt_u32_e32 vcc, s16, v0
	ds_write_b32 v19, v1 offset:960
	s_and_b64 exec, exec, vcc
	s_cbranch_execz .LBB31_61
; %bb.58:
	s_movk_i32 s16, 0x78
	v_mov_b32_e32 v1, 0
	v_cmp_gt_u32_e32 vcc, s16, v0
	ds_write_b32 v19, v1 offset:1200
	s_and_b64 exec, exec, vcc
	s_cbranch_execz .LBB31_61
; %bb.59:
	v_cmp_gt_u32_e32 vcc, 60, v0
	ds_write_b32 v19, v1 offset:1440
	s_and_b64 exec, exec, vcc
; %bb.60:
	v_mov_b32_e32 v1, 0
	ds_write_b32 v19, v1 offset:1680
.LBB31_61:
	s_or_b64 exec, exec, s[18:19]
	v_lshrrev_b16_e32 v1, 12, v8
	v_and_b32_e32 v2, 7, v1
	v_lshrrev_b32_e32 v1, 2, v1
	v_mad_u32_u24 v0, v2, 60, v0
	v_and_b32_e32 v1, 2, v1
	v_lshl_or_b32 v19, v0, 2, v1
	ds_read_u16 v20, v19
	s_waitcnt lgkmcnt(0)
	v_add_u16_e32 v0, 1, v20
	ds_write_b16 v19, v0
	s_waitcnt lgkmcnt(0)
	; wave barrier
	ds_read2_b64 v[4:7], v17 offset1:1
	ds_read2_b64 v[0:3], v17 offset0:2 offset1:3
	s_waitcnt lgkmcnt(1)
	v_add_u32_e32 v21, v5, v4
	v_add3_u32 v21, v21, v6, v7
	s_waitcnt lgkmcnt(0)
	v_add3_u32 v21, v21, v0, v1
	v_add3_u32 v3, v21, v2, v3
	s_nop 1
	v_mov_b32_dpp v21, v3 row_shr:1 row_mask:0xf bank_mask:0xf
	v_cndmask_b32_e64 v21, v21, 0, s[14:15]
	v_add_u32_e32 v3, v21, v3
	s_nop 1
	v_mov_b32_dpp v21, v3 row_shr:2 row_mask:0xf bank_mask:0xf
	v_cndmask_b32_e64 v21, 0, v21, s[12:13]
	v_add_u32_e32 v3, v3, v21
	;; [unrolled: 4-line block ×4, first 2 shown]
	s_nop 1
	v_mov_b32_dpp v21, v3 row_bcast:15 row_mask:0xf bank_mask:0xf
	v_cndmask_b32_e64 v21, v21, 0, s[6:7]
	v_add_u32_e32 v3, v3, v21
	s_nop 1
	v_mov_b32_dpp v21, v3 row_bcast:31 row_mask:0xf bank_mask:0xf
	v_cndmask_b32_e64 v21, 0, v21, s[4:5]
	v_add_u32_e32 v3, v3, v21
	s_and_saveexec_b64 s[4:5], s[2:3]
; %bb.62:
	v_mov_b32_e32 v21, 0
	ds_write_b32 v21, v3 offset:1920
; %bb.63:
	s_or_b64 exec, exec, s[4:5]
	ds_bpermute_b32 v3, v18, v3
	v_mov_b32_e32 v18, 0
	s_waitcnt lgkmcnt(0)
	; wave barrier
	ds_read_b32 v18, v18 offset:1920
	v_cndmask_b32_e64 v3, v3, 0, s[0:1]
	s_waitcnt lgkmcnt(0)
	v_lshl_add_u32 v3, v18, 16, v3
	v_add_u32_e32 v4, v3, v4
	v_add_u32_e32 v5, v4, v5
	;; [unrolled: 1-line block ×7, first 2 shown]
	ds_write2_b64 v17, v[3:4], v[5:6] offset1:1
	ds_write2_b64 v17, v[21:22], v[0:1] offset0:2 offset1:3
	s_waitcnt lgkmcnt(0)
	; wave barrier
	ds_read_u16 v0, v19
	s_waitcnt lgkmcnt(0)
	; wave barrier
	v_add_u32_sdwa v0, v0, v20 dst_sel:DWORD dst_unused:UNUSED_PAD src0_sel:DWORD src1_sel:WORD_0
	v_lshlrev_b32_e32 v2, 1, v0
	ds_write_b16 v2, v8
	s_waitcnt lgkmcnt(0)
	; wave barrier
	ds_read_u16 v1, v16
	v_mad_u32_u24 v0, v0, 6, v2
	s_waitcnt lgkmcnt(0)
	; wave barrier
	ds_write_b64 v0, v[13:14]
	s_waitcnt lgkmcnt(0)
	; wave barrier
.LBB31_64:
	ds_read_b64 v[2:3], v15
	v_xor_b32_e32 v0, -1, v1
	global_store_short v[9:10], v0, off
	s_waitcnt lgkmcnt(0)
	global_store_dwordx2 v[11:12], v[2:3], off
	s_endpgm
	.section	.rodata,"a",@progbits
	.p2align	6, 0x0
	.amdhsa_kernel _Z21sort_key_value_kernelILj60ELj1ELb0ELb1EtdEvPT3_PT4_jj
		.amdhsa_group_segment_fixed_size 1936
		.amdhsa_private_segment_fixed_size 0
		.amdhsa_kernarg_size 24
		.amdhsa_user_sgpr_count 6
		.amdhsa_user_sgpr_private_segment_buffer 1
		.amdhsa_user_sgpr_dispatch_ptr 0
		.amdhsa_user_sgpr_queue_ptr 0
		.amdhsa_user_sgpr_kernarg_segment_ptr 1
		.amdhsa_user_sgpr_dispatch_id 0
		.amdhsa_user_sgpr_flat_scratch_init 0
		.amdhsa_user_sgpr_private_segment_size 0
		.amdhsa_uses_dynamic_stack 0
		.amdhsa_system_sgpr_private_segment_wavefront_offset 0
		.amdhsa_system_sgpr_workgroup_id_x 1
		.amdhsa_system_sgpr_workgroup_id_y 0
		.amdhsa_system_sgpr_workgroup_id_z 0
		.amdhsa_system_sgpr_workgroup_info 0
		.amdhsa_system_vgpr_workitem_id 0
		.amdhsa_next_free_vgpr 29
		.amdhsa_next_free_sgpr 61
		.amdhsa_reserve_vcc 1
		.amdhsa_reserve_flat_scratch 0
		.amdhsa_float_round_mode_32 0
		.amdhsa_float_round_mode_16_64 0
		.amdhsa_float_denorm_mode_32 3
		.amdhsa_float_denorm_mode_16_64 3
		.amdhsa_dx10_clamp 1
		.amdhsa_ieee_mode 1
		.amdhsa_fp16_overflow 0
		.amdhsa_exception_fp_ieee_invalid_op 0
		.amdhsa_exception_fp_denorm_src 0
		.amdhsa_exception_fp_ieee_div_zero 0
		.amdhsa_exception_fp_ieee_overflow 0
		.amdhsa_exception_fp_ieee_underflow 0
		.amdhsa_exception_fp_ieee_inexact 0
		.amdhsa_exception_int_div_zero 0
	.end_amdhsa_kernel
	.section	.text._Z21sort_key_value_kernelILj60ELj1ELb0ELb1EtdEvPT3_PT4_jj,"axG",@progbits,_Z21sort_key_value_kernelILj60ELj1ELb0ELb1EtdEvPT3_PT4_jj,comdat
.Lfunc_end31:
	.size	_Z21sort_key_value_kernelILj60ELj1ELb0ELb1EtdEvPT3_PT4_jj, .Lfunc_end31-_Z21sort_key_value_kernelILj60ELj1ELb0ELb1EtdEvPT3_PT4_jj
                                        ; -- End function
	.set _Z21sort_key_value_kernelILj60ELj1ELb0ELb1EtdEvPT3_PT4_jj.num_vgpr, 29
	.set _Z21sort_key_value_kernelILj60ELj1ELb0ELb1EtdEvPT3_PT4_jj.num_agpr, 0
	.set _Z21sort_key_value_kernelILj60ELj1ELb0ELb1EtdEvPT3_PT4_jj.numbered_sgpr, 42
	.set _Z21sort_key_value_kernelILj60ELj1ELb0ELb1EtdEvPT3_PT4_jj.num_named_barrier, 0
	.set _Z21sort_key_value_kernelILj60ELj1ELb0ELb1EtdEvPT3_PT4_jj.private_seg_size, 0
	.set _Z21sort_key_value_kernelILj60ELj1ELb0ELb1EtdEvPT3_PT4_jj.uses_vcc, 1
	.set _Z21sort_key_value_kernelILj60ELj1ELb0ELb1EtdEvPT3_PT4_jj.uses_flat_scratch, 0
	.set _Z21sort_key_value_kernelILj60ELj1ELb0ELb1EtdEvPT3_PT4_jj.has_dyn_sized_stack, 0
	.set _Z21sort_key_value_kernelILj60ELj1ELb0ELb1EtdEvPT3_PT4_jj.has_recursion, 0
	.set _Z21sort_key_value_kernelILj60ELj1ELb0ELb1EtdEvPT3_PT4_jj.has_indirect_call, 0
	.section	.AMDGPU.csdata,"",@progbits
; Kernel info:
; codeLenInByte = 3716
; TotalNumSgprs: 46
; NumVgprs: 29
; ScratchSize: 0
; MemoryBound: 0
; FloatMode: 240
; IeeeMode: 1
; LDSByteSize: 1936 bytes/workgroup (compile time only)
; SGPRBlocks: 8
; VGPRBlocks: 7
; NumSGPRsForWavesPerEU: 65
; NumVGPRsForWavesPerEU: 29
; Occupancy: 8
; WaveLimiterHint : 0
; COMPUTE_PGM_RSRC2:SCRATCH_EN: 0
; COMPUTE_PGM_RSRC2:USER_SGPR: 6
; COMPUTE_PGM_RSRC2:TRAP_HANDLER: 0
; COMPUTE_PGM_RSRC2:TGID_X_EN: 1
; COMPUTE_PGM_RSRC2:TGID_Y_EN: 0
; COMPUTE_PGM_RSRC2:TGID_Z_EN: 0
; COMPUTE_PGM_RSRC2:TIDIG_COMP_CNT: 0
	.section	.text._Z21sort_key_value_kernelILj512ELj2ELb1ELb0EhiEvPT3_PT4_jj,"axG",@progbits,_Z21sort_key_value_kernelILj512ELj2ELb1ELb0EhiEvPT3_PT4_jj,comdat
	.protected	_Z21sort_key_value_kernelILj512ELj2ELb1ELb0EhiEvPT3_PT4_jj ; -- Begin function _Z21sort_key_value_kernelILj512ELj2ELb1ELb0EhiEvPT3_PT4_jj
	.globl	_Z21sort_key_value_kernelILj512ELj2ELb1ELb0EhiEvPT3_PT4_jj
	.p2align	8
	.type	_Z21sort_key_value_kernelILj512ELj2ELb1ELb0EhiEvPT3_PT4_jj,@function
_Z21sort_key_value_kernelILj512ELj2ELb1ELb0EhiEvPT3_PT4_jj: ; @_Z21sort_key_value_kernelILj512ELj2ELb1ELb0EhiEvPT3_PT4_jj
; %bb.0:
	s_load_dwordx4 s[0:3], s[4:5], 0x0
	s_load_dwordx2 s[40:41], s[4:5], 0x10
	s_lshl_b32 s34, s6, 10
	s_mov_b32 s35, 0
	v_lshlrev_b32_e32 v5, 1, v0
	s_waitcnt lgkmcnt(0)
	s_add_u32 s36, s0, s34
	s_addc_u32 s37, s1, 0
	s_lshl_b64 s[0:1], s[34:35], 2
	s_add_u32 s38, s2, s0
	global_load_ushort v3, v5, s[36:37]
	s_addc_u32 s39, s3, s1
	v_lshlrev_b32_e32 v4, 3, v0
	global_load_dwordx2 v[7:8], v4, s[38:39]
	v_mbcnt_lo_u32_b32 v4, -1, 0
	v_mbcnt_hi_u32_b32 v16, -1, v4
	s_cmp_lg_u32 s40, 0
	v_lshrrev_b32_e32 v4, 1, v16
	s_cselect_b64 s[10:11], -1, 0
	s_cmp_lg_u32 s41, 8
	v_and_or_b32 v4, v16, 64, v4
	s_cselect_b64 s[12:13], -1, 0
	v_and_b32_e32 v6, 1, v16
	v_lshlrev_b32_e32 v21, 2, v4
	s_or_b64 s[10:11], s[10:11], s[12:13]
	v_lshlrev_b32_e32 v15, 4, v0
	v_cmp_gt_u32_e64 s[2:3], 8, v0
	v_cmp_lt_u32_e64 s[6:7], 63, v0
	v_lshrrev_b32_e32 v19, 4, v0
	v_and_b32_e32 v18, 15, v16
	v_cmp_lt_u32_e64 s[8:9], 31, v16
	v_and_b32_e32 v17, 64, v16
	v_cmp_eq_u32_e64 s[0:1], 0, v6
	v_xor_b32_e32 v20, 0x80, v21
	s_and_b64 vcc, exec, s[10:11]
	s_waitcnt vmcnt(1)
	v_and_b32_e32 v24, 0xff, v3
	v_lshrrev_b16_e32 v23, 8, v3
	s_cbranch_vccz .LBB32_15
; %bb.1:
	ds_bpermute_b32 v3, v21, v23
	ds_bpermute_b32 v4, v21, v24
	;; [unrolled: 1-line block ×4, first 2 shown]
	s_mov_b64 vcc, s[0:1]
	s_waitcnt lgkmcnt(3)
	v_and_b32_e32 v3, 0xff, v3
	s_waitcnt lgkmcnt(2)
	v_cndmask_b32_sdwa v4, v3, v4, vcc dst_sel:DWORD dst_unused:UNUSED_PAD src0_sel:DWORD src1_sel:BYTE_0
	s_waitcnt lgkmcnt(1)
	v_lshlrev_b16_e32 v6, 8, v6
	v_or_b32_e32 v4, v4, v6
	v_cndmask_b32_e64 v3, v3, v4, s[0:1]
	s_waitcnt lgkmcnt(0)
	v_lshlrev_b16_e32 v6, 8, v9
	s_waitcnt vmcnt(0)
	s_barrier
	s_load_dword s10, s[4:5], 0x24
	v_or_b32_sdwa v3, v3, v6 dst_sel:DWORD dst_unused:UNUSED_PAD src0_sel:BYTE_0 src1_sel:DWORD
	ds_bpermute_b32 v6, v21, v7
	ds_bpermute_b32 v9, v21, v8
	;; [unrolled: 1-line block ×4, first 2 shown]
	v_cndmask_b32_e64 v3, v3, v4, s[0:1]
	s_waitcnt lgkmcnt(0)
	s_lshr_b32 s11, s10, 16
	v_and_b32_e32 v25, 0xffff, v3
	v_cndmask_b32_e64 v3, v9, v6, s[0:1]
	s_and_b32 s10, s10, 0xffff
	v_mad_u32_u24 v6, v2, s11, v1
	v_cndmask_b32_e64 v4, v11, v10, s[0:1]
	v_mad_u64_u32 v[9:10], s[10:11], v6, s10, v[0:1]
	v_and_b32_e32 v6, 16, v16
	v_cmp_eq_u32_e64 s[18:19], 0, v6
	v_or_b32_e32 v6, 63, v0
	v_cmp_eq_u32_e64 s[20:21], v0, v6
	v_subrev_co_u32_e64 v6, s[22:23], 1, v16
	v_cmp_lt_i32_e32 vcc, v6, v17
	v_cndmask_b32_e32 v6, v6, v16, vcc
	s_movk_i32 s33, 0x380
	v_lshlrev_b32_e32 v26, 2, v6
	v_and_b32_e32 v6, 7, v16
	v_and_or_b32 v28, v5, s33, v16
	s_mov_b32 s34, s35
	s_mov_b32 s44, s35
	v_and_b32_e32 v27, 28, v19
	v_cmp_eq_u32_e64 s[26:27], 0, v6
	v_cmp_lt_u32_e64 s[28:29], 1, v6
	v_cmp_lt_u32_e64 s[30:31], 3, v6
	v_lshrrev_b32_e32 v5, 4, v9
	v_mul_u32_u24_e32 v6, 3, v28
	s_mov_b32 s45, s35
	v_mov_b32_e32 v9, s34
	v_mov_b32_e32 v11, s44
	v_cmp_eq_u32_e64 s[10:11], 0, v18
	v_cmp_lt_u32_e64 s[12:13], 1, v18
	v_cmp_lt_u32_e64 s[14:15], 3, v18
	;; [unrolled: 1-line block ×3, first 2 shown]
	v_cmp_eq_u32_e64 s[24:25], 0, v0
	v_mad_i32_i24 v22, v0, -12, v15
	v_and_b32_e32 v30, 0xffffffc, v5
	s_sub_i32 s42, s41, s40
	s_mov_b32 s33, 0xc0c0004
	v_add_u32_e32 v32, v28, v6
	v_add_u32_e32 v33, -4, v27
	v_mov_b32_e32 v10, s35
	v_mov_b32_e32 v12, s45
	;; [unrolled: 1-line block ×3, first 2 shown]
	s_branch .LBB32_3
.LBB32_2:                               ;   in Loop: Header=BB32_3 Depth=1
	s_andn2_b64 vcc, exec, s[34:35]
	s_mov_b32 s42, s43
	s_cbranch_vccz .LBB32_16
.LBB32_3:                               ; =>This Inner Loop Header: Depth=1
	s_min_u32 s34, s42, 8
	s_lshl_b32 s34, -1, s34
	v_mov_b32_e32 v31, v3
	s_not_b32 s43, s34
	v_lshrrev_b32_sdwa v3, s40, v25 dst_sel:DWORD dst_unused:UNUSED_PAD src0_sel:DWORD src1_sel:BYTE_0
	v_and_b32_e32 v3, s43, v3
	v_mov_b32_e32 v29, v4
	v_and_b32_e32 v4, 1, v3
	v_add_co_u32_e32 v6, vcc, -1, v4
	v_addc_co_u32_e64 v14, s[34:35], 0, -1, vcc
	v_cmp_ne_u32_e32 vcc, 0, v4
	v_xor_b32_e32 v4, vcc_hi, v14
	v_lshlrev_b32_e32 v14, 30, v3
	v_xor_b32_e32 v6, vcc_lo, v6
	v_cmp_gt_i64_e32 vcc, 0, v[13:14]
	v_not_b32_e32 v14, v14
	v_ashrrev_i32_e32 v14, 31, v14
	v_and_b32_e32 v6, exec_lo, v6
	v_xor_b32_e32 v34, vcc_hi, v14
	v_xor_b32_e32 v14, vcc_lo, v14
	v_and_b32_e32 v6, v6, v14
	v_lshlrev_b32_e32 v14, 29, v3
	v_cmp_gt_i64_e32 vcc, 0, v[13:14]
	v_not_b32_e32 v14, v14
	v_and_b32_e32 v4, exec_hi, v4
	v_ashrrev_i32_e32 v14, 31, v14
	v_and_b32_e32 v4, v4, v34
	v_xor_b32_e32 v34, vcc_hi, v14
	v_xor_b32_e32 v14, vcc_lo, v14
	v_and_b32_e32 v6, v6, v14
	v_lshlrev_b32_e32 v14, 28, v3
	v_cmp_gt_i64_e32 vcc, 0, v[13:14]
	v_not_b32_e32 v14, v14
	v_ashrrev_i32_e32 v14, 31, v14
	v_and_b32_e32 v4, v4, v34
	v_xor_b32_e32 v34, vcc_hi, v14
	v_xor_b32_e32 v14, vcc_lo, v14
	v_and_b32_e32 v6, v6, v14
	v_lshlrev_b32_e32 v14, 27, v3
	v_cmp_gt_i64_e32 vcc, 0, v[13:14]
	v_not_b32_e32 v14, v14
	;; [unrolled: 8-line block ×4, first 2 shown]
	v_ashrrev_i32_e32 v14, 31, v14
	v_and_b32_e32 v4, v4, v34
	v_xor_b32_e32 v34, vcc_hi, v14
	v_xor_b32_e32 v14, vcc_lo, v14
	v_and_b32_e32 v6, v6, v14
	v_lshlrev_b32_e32 v14, 24, v3
	v_lshlrev_b32_e32 v5, 5, v3
	v_cmp_gt_i64_e32 vcc, 0, v[13:14]
	v_not_b32_e32 v3, v14
	v_ashrrev_i32_e32 v3, 31, v3
	v_xor_b32_e32 v14, vcc_hi, v3
	v_xor_b32_e32 v3, vcc_lo, v3
	v_and_b32_e32 v4, v4, v34
	v_and_b32_e32 v3, v6, v3
	;; [unrolled: 1-line block ×3, first 2 shown]
	v_mbcnt_lo_u32_b32 v6, v3, 0
	v_mbcnt_hi_u32_b32 v35, v4, v6
	v_cmp_ne_u64_e32 vcc, 0, v[3:4]
	v_cmp_eq_u32_e64 s[34:35], 0, v35
	s_and_b64 s[44:45], vcc, s[34:35]
	v_add_u32_e32 v36, v30, v5
	ds_write2_b64 v15, v[9:10], v[11:12] offset0:4 offset1:5
	s_waitcnt lgkmcnt(0)
	s_barrier
	; wave barrier
	s_and_saveexec_b64 s[34:35], s[44:45]
; %bb.4:                                ;   in Loop: Header=BB32_3 Depth=1
	v_bcnt_u32_b32 v3, v3, 0
	v_bcnt_u32_b32 v3, v4, v3
	ds_write_b32 v36, v3 offset:32
; %bb.5:                                ;   in Loop: Header=BB32_3 Depth=1
	s_or_b64 exec, exec, s[34:35]
	v_lshrrev_b16_e32 v34, 8, v25
	v_lshrrev_b32_e32 v3, s40, v34
	v_and_b32_e32 v3, s43, v3
	v_lshlrev_b32_e32 v4, 5, v3
	v_add_u32_e32 v38, v30, v4
	v_and_b32_e32 v4, 1, v3
	v_add_co_u32_e32 v5, vcc, -1, v4
	v_addc_co_u32_e64 v6, s[34:35], 0, -1, vcc
	v_cmp_ne_u32_e32 vcc, 0, v4
	v_lshlrev_b32_e32 v14, 30, v3
	v_xor_b32_e32 v4, vcc_hi, v6
	v_xor_b32_e32 v5, vcc_lo, v5
	v_cmp_gt_i64_e32 vcc, 0, v[13:14]
	v_not_b32_e32 v6, v14
	v_ashrrev_i32_e32 v6, 31, v6
	v_and_b32_e32 v4, exec_hi, v4
	v_xor_b32_e32 v14, vcc_hi, v6
	v_and_b32_e32 v5, exec_lo, v5
	v_xor_b32_e32 v6, vcc_lo, v6
	v_and_b32_e32 v4, v4, v14
	v_lshlrev_b32_e32 v14, 29, v3
	v_and_b32_e32 v5, v5, v6
	v_cmp_gt_i64_e32 vcc, 0, v[13:14]
	v_not_b32_e32 v6, v14
	v_ashrrev_i32_e32 v6, 31, v6
	v_xor_b32_e32 v14, vcc_hi, v6
	v_xor_b32_e32 v6, vcc_lo, v6
	v_and_b32_e32 v4, v4, v14
	v_lshlrev_b32_e32 v14, 28, v3
	v_and_b32_e32 v5, v5, v6
	v_cmp_gt_i64_e32 vcc, 0, v[13:14]
	v_not_b32_e32 v6, v14
	v_ashrrev_i32_e32 v6, 31, v6
	v_xor_b32_e32 v14, vcc_hi, v6
	;; [unrolled: 8-line block ×5, first 2 shown]
	v_and_b32_e32 v4, v4, v14
	v_lshlrev_b32_e32 v14, 24, v3
	v_xor_b32_e32 v6, vcc_lo, v6
	v_cmp_gt_i64_e32 vcc, 0, v[13:14]
	v_not_b32_e32 v3, v14
	v_ashrrev_i32_e32 v3, 31, v3
	v_and_b32_e32 v5, v5, v6
	v_xor_b32_e32 v6, vcc_hi, v3
	v_xor_b32_e32 v3, vcc_lo, v3
	; wave barrier
	ds_read_b32 v37, v38 offset:32
	v_and_b32_e32 v3, v5, v3
	v_and_b32_e32 v4, v4, v6
	v_mbcnt_lo_u32_b32 v5, v3, 0
	v_mbcnt_hi_u32_b32 v14, v4, v5
	v_cmp_ne_u64_e32 vcc, 0, v[3:4]
	v_cmp_eq_u32_e64 s[34:35], 0, v14
	s_and_b64 s[44:45], vcc, s[34:35]
	; wave barrier
	s_and_saveexec_b64 s[34:35], s[44:45]
	s_cbranch_execz .LBB32_7
; %bb.6:                                ;   in Loop: Header=BB32_3 Depth=1
	v_bcnt_u32_b32 v3, v3, 0
	v_bcnt_u32_b32 v3, v4, v3
	s_waitcnt lgkmcnt(0)
	v_add_u32_e32 v3, v37, v3
	ds_write_b32 v38, v3 offset:32
.LBB32_7:                               ;   in Loop: Header=BB32_3 Depth=1
	s_or_b64 exec, exec, s[34:35]
	; wave barrier
	s_waitcnt lgkmcnt(0)
	s_barrier
	ds_read2_b64 v[3:6], v15 offset0:4 offset1:5
	s_waitcnt lgkmcnt(0)
	v_add_u32_e32 v39, v4, v3
	v_add3_u32 v6, v39, v5, v6
	s_nop 1
	v_mov_b32_dpp v39, v6 row_shr:1 row_mask:0xf bank_mask:0xf
	v_cndmask_b32_e64 v39, v39, 0, s[10:11]
	v_add_u32_e32 v6, v39, v6
	s_nop 1
	v_mov_b32_dpp v39, v6 row_shr:2 row_mask:0xf bank_mask:0xf
	v_cndmask_b32_e64 v39, 0, v39, s[12:13]
	v_add_u32_e32 v6, v6, v39
	;; [unrolled: 4-line block ×4, first 2 shown]
	s_nop 1
	v_mov_b32_dpp v39, v6 row_bcast:15 row_mask:0xf bank_mask:0xf
	v_cndmask_b32_e64 v39, v39, 0, s[18:19]
	v_add_u32_e32 v6, v6, v39
	s_nop 1
	v_mov_b32_dpp v39, v6 row_bcast:31 row_mask:0xf bank_mask:0xf
	v_cndmask_b32_e64 v39, 0, v39, s[8:9]
	v_add_u32_e32 v6, v6, v39
	s_and_saveexec_b64 s[34:35], s[20:21]
; %bb.8:                                ;   in Loop: Header=BB32_3 Depth=1
	ds_write_b32 v27, v6
; %bb.9:                                ;   in Loop: Header=BB32_3 Depth=1
	s_or_b64 exec, exec, s[34:35]
	s_waitcnt lgkmcnt(0)
	s_barrier
	s_and_saveexec_b64 s[34:35], s[2:3]
	s_cbranch_execz .LBB32_11
; %bb.10:                               ;   in Loop: Header=BB32_3 Depth=1
	ds_read_b32 v39, v22
	s_waitcnt lgkmcnt(0)
	s_nop 0
	v_mov_b32_dpp v40, v39 row_shr:1 row_mask:0xf bank_mask:0xf
	v_cndmask_b32_e64 v40, v40, 0, s[26:27]
	v_add_u32_e32 v39, v40, v39
	s_nop 1
	v_mov_b32_dpp v40, v39 row_shr:2 row_mask:0xf bank_mask:0xf
	v_cndmask_b32_e64 v40, 0, v40, s[28:29]
	v_add_u32_e32 v39, v39, v40
	;; [unrolled: 4-line block ×3, first 2 shown]
	ds_write_b32 v22, v39
.LBB32_11:                              ;   in Loop: Header=BB32_3 Depth=1
	s_or_b64 exec, exec, s[34:35]
	v_mov_b32_e32 v39, 0
	s_waitcnt lgkmcnt(0)
	s_barrier
	s_and_saveexec_b64 s[34:35], s[6:7]
; %bb.12:                               ;   in Loop: Header=BB32_3 Depth=1
	ds_read_b32 v39, v33
; %bb.13:                               ;   in Loop: Header=BB32_3 Depth=1
	s_or_b64 exec, exec, s[34:35]
	s_waitcnt lgkmcnt(0)
	v_add_u32_e32 v6, v39, v6
	ds_bpermute_b32 v6, v26, v6
	s_add_i32 s40, s40, 8
	s_cmp_ge_u32 s40, s41
	s_mov_b64 s[34:35], -1
	v_readfirstlane_b32 s43, v0
	s_waitcnt lgkmcnt(0)
	v_cndmask_b32_e64 v6, v6, v39, s[22:23]
	v_cndmask_b32_e64 v39, v6, 0, s[24:25]
	v_add_u32_e32 v40, v39, v3
	v_add_u32_e32 v3, v40, v4
	;; [unrolled: 1-line block ×3, first 2 shown]
	ds_write2_b64 v15, v[39:40], v[3:4] offset0:4 offset1:5
	s_waitcnt lgkmcnt(0)
	s_barrier
	ds_read_b32 v3, v36 offset:32
	ds_read_b32 v4, v38 offset:32
	v_mov_b32_e32 v36, v25
	s_waitcnt lgkmcnt(0)
	v_add_u32_e32 v6, v3, v35
	v_add3_u32 v5, v14, v37, v4
                                        ; implicit-def: $vgpr4
	s_cbranch_scc1 .LBB32_2
; %bb.14:                               ;   in Loop: Header=BB32_3 Depth=1
	s_barrier
	ds_write_b8 v6, v25
	ds_write_b8 v5, v34
	s_waitcnt lgkmcnt(0)
	s_barrier
	ds_read_u8 v3, v28 offset:64
	ds_read_u8 v4, v28
	v_mad_u64_u32 v[37:38], s[34:35], v5, 3, v[5:6]
	s_waitcnt lgkmcnt(0)
	s_barrier
	v_perm_b32 v25, v4, v3, s33
	v_mad_u64_u32 v[3:4], s[34:35], v6, 3, v[6:7]
	ds_write_b32 v3, v31
	ds_write_b32 v37, v29
	s_waitcnt lgkmcnt(0)
	s_barrier
	ds_read2st64_b32 v[3:4], v32 offset1:1
	s_add_i32 s43, s42, -8
	s_mov_b64 s[34:35], 0
	s_waitcnt lgkmcnt(0)
	s_barrier
	s_branch .LBB32_2
.LBB32_15:
                                        ; implicit-def: $vgpr3
                                        ; implicit-def: $vgpr22
	s_cbranch_execnz .LBB32_17
	s_branch .LBB32_28
.LBB32_16:
	s_barrier
	ds_write_b8 v6, v36
	ds_write_b8 v5, v34
	s_waitcnt lgkmcnt(0)
	s_barrier
	ds_read_u8 v3, v0 offset:512
	ds_read_u8 v4, v0
	s_mov_b32 s2, 0xc0c0004
	s_waitcnt lgkmcnt(0)
	s_barrier
	v_perm_b32 v3, v4, v3, s2
	v_mad_u64_u32 v[9:10], s[2:3], v6, 3, v[6:7]
	v_mad_u64_u32 v[4:5], s[2:3], v5, 3, v[5:6]
	ds_write_b32 v9, v31
	ds_write_b32 v4, v29
	s_waitcnt lgkmcnt(0)
	s_barrier
	s_branch .LBB32_28
.LBB32_17:
	ds_bpermute_b32 v3, v21, v23
	ds_bpermute_b32 v4, v20, v24
	;; [unrolled: 1-line block ×3, first 2 shown]
	s_waitcnt vmcnt(0) lgkmcnt(0)
	s_barrier
	s_load_dword s2, s[4:5], 0x24
	s_mov_b64 vcc, s[0:1]
	v_and_b32_e32 v3, 0xff, v3
	v_lshlrev_b16_e32 v4, 8, v4
	v_cndmask_b32_sdwa v5, v3, v5, vcc dst_sel:DWORD dst_unused:UNUSED_PAD src0_sel:DWORD src1_sel:BYTE_0
	v_or_b32_e32 v4, v5, v4
	ds_bpermute_b32 v5, v20, v23
	s_waitcnt lgkmcnt(0)
	s_lshr_b32 s3, s2, 16
	s_and_b32 s2, s2, 0xffff
	v_mad_u32_u24 v1, v2, s3, v1
	v_mad_u64_u32 v[1:2], s[2:3], v1, s2, v[0:1]
	v_cndmask_b32_e64 v3, v3, v4, s[0:1]
	v_lshlrev_b16_e32 v5, 8, v5
	s_mov_b32 s2, 0
	v_or_b32_sdwa v3, v3, v5 dst_sel:DWORD dst_unused:UNUSED_PAD src0_sel:BYTE_0 src1_sel:DWORD
	s_mov_b32 s4, s2
	v_cndmask_b32_e64 v9, v3, v4, s[0:1]
	v_lshrrev_b32_e32 v10, 6, v1
	s_mov_b32 s3, s2
	s_mov_b32 s5, s2
	v_mov_b32_e32 v1, s2
	v_mov_b32_e32 v3, s4
	v_mov_b32_e32 v2, s3
	v_mov_b32_e32 v4, s5
	ds_write2_b64 v15, v[1:2], v[3:4] offset0:4 offset1:5
	v_and_b32_e32 v2, 1, v9
	v_add_co_u32_e32 v3, vcc, -1, v2
	v_addc_co_u32_e64 v11, s[2:3], 0, -1, vcc
	v_cmp_ne_u32_e32 vcc, 0, v2
	v_lshlrev_b32_e32 v4, 2, v10
	v_and_b32_e32 v1, 0xff, v9
	v_xor_b32_e32 v2, vcc_hi, v11
	v_lshl_add_u32 v10, v1, 5, v4
	v_mov_b32_e32 v1, 0
	v_and_b32_e32 v11, exec_hi, v2
	v_lshlrev_b32_e32 v2, 30, v9
	v_xor_b32_e32 v3, vcc_lo, v3
	v_cmp_gt_i64_e32 vcc, 0, v[1:2]
	v_not_b32_e32 v2, v2
	v_ashrrev_i32_e32 v2, 31, v2
	v_and_b32_e32 v3, exec_lo, v3
	v_xor_b32_e32 v12, vcc_hi, v2
	v_xor_b32_e32 v2, vcc_lo, v2
	v_and_b32_e32 v3, v3, v2
	v_lshlrev_b32_e32 v2, 29, v9
	v_cmp_gt_i64_e32 vcc, 0, v[1:2]
	v_not_b32_e32 v2, v2
	v_ashrrev_i32_e32 v2, 31, v2
	v_and_b32_e32 v11, v11, v12
	v_xor_b32_e32 v12, vcc_hi, v2
	v_xor_b32_e32 v2, vcc_lo, v2
	v_and_b32_e32 v3, v3, v2
	v_lshlrev_b32_e32 v2, 28, v9
	v_cmp_gt_i64_e32 vcc, 0, v[1:2]
	v_not_b32_e32 v2, v2
	v_ashrrev_i32_e32 v2, 31, v2
	v_and_b32_e32 v11, v11, v12
	;; [unrolled: 8-line block ×5, first 2 shown]
	v_xor_b32_e32 v12, vcc_hi, v2
	v_xor_b32_e32 v2, vcc_lo, v2
	v_and_b32_e32 v11, v11, v12
	v_and_b32_e32 v12, v3, v2
	v_lshlrev_b32_e32 v2, 24, v9
	v_cmp_gt_i64_e32 vcc, 0, v[1:2]
	v_not_b32_e32 v2, v2
	v_ashrrev_i32_e32 v2, 31, v2
	v_xor_b32_e32 v3, vcc_hi, v2
	v_xor_b32_e32 v2, vcc_lo, v2
	ds_bpermute_b32 v5, v21, v7
	ds_bpermute_b32 v6, v21, v8
	;; [unrolled: 1-line block ×4, first 2 shown]
	v_and_b32_e32 v2, v12, v2
	v_and_b32_e32 v3, v11, v3
	v_mbcnt_lo_u32_b32 v11, v2, 0
	v_mbcnt_hi_u32_b32 v11, v3, v11
	v_cmp_ne_u64_e32 vcc, 0, v[2:3]
	v_cmp_eq_u32_e64 s[2:3], 0, v11
	s_and_b64 s[4:5], vcc, s[2:3]
	s_waitcnt lgkmcnt(0)
	s_barrier
	; wave barrier
	s_and_saveexec_b64 s[2:3], s[4:5]
; %bb.18:
	v_bcnt_u32_b32 v2, v2, 0
	v_bcnt_u32_b32 v2, v3, v2
	ds_write_b32 v10, v2 offset:32
; %bb.19:
	s_or_b64 exec, exec, s[2:3]
	v_mov_b32_e32 v2, 8
	v_lshrrev_b16_sdwa v12, v2, v9 dst_sel:DWORD dst_unused:UNUSED_PAD src0_sel:DWORD src1_sel:WORD_0
	v_and_b32_e32 v2, 1, v12
	v_add_co_u32_e32 v3, vcc, -1, v2
	v_lshl_add_u32 v14, v12, 5, v4
	v_addc_co_u32_e64 v4, s[2:3], 0, -1, vcc
	v_cmp_ne_u32_e32 vcc, 0, v2
	v_xor_b32_e32 v2, vcc_hi, v4
	v_and_b32_e32 v4, exec_hi, v2
	v_lshlrev_b32_e32 v2, 30, v12
	v_xor_b32_e32 v3, vcc_lo, v3
	v_cmp_gt_i64_e32 vcc, 0, v[1:2]
	v_not_b32_e32 v2, v2
	v_ashrrev_i32_e32 v2, 31, v2
	v_and_b32_e32 v3, exec_lo, v3
	v_xor_b32_e32 v20, vcc_hi, v2
	v_xor_b32_e32 v2, vcc_lo, v2
	v_and_b32_e32 v3, v3, v2
	v_lshlrev_b32_e32 v2, 29, v12
	v_cmp_gt_i64_e32 vcc, 0, v[1:2]
	v_not_b32_e32 v2, v2
	v_ashrrev_i32_e32 v2, 31, v2
	v_and_b32_e32 v4, v4, v20
	v_xor_b32_e32 v20, vcc_hi, v2
	v_xor_b32_e32 v2, vcc_lo, v2
	v_and_b32_e32 v3, v3, v2
	v_lshlrev_b32_e32 v2, 28, v12
	v_cmp_gt_i64_e32 vcc, 0, v[1:2]
	v_not_b32_e32 v2, v2
	v_ashrrev_i32_e32 v2, 31, v2
	v_and_b32_e32 v4, v4, v20
	;; [unrolled: 8-line block ×5, first 2 shown]
	v_xor_b32_e32 v20, vcc_hi, v2
	v_xor_b32_e32 v2, vcc_lo, v2
	v_and_b32_e32 v3, v3, v2
	v_lshlrev_b32_e32 v2, 24, v12
	v_cmp_gt_i64_e32 vcc, 0, v[1:2]
	v_not_b32_e32 v1, v2
	v_ashrrev_i32_e32 v1, 31, v1
	v_xor_b32_e32 v2, vcc_hi, v1
	v_xor_b32_e32 v1, vcc_lo, v1
	; wave barrier
	ds_read_b32 v13, v14 offset:32
	v_and_b32_e32 v4, v4, v20
	v_and_b32_e32 v1, v3, v1
	;; [unrolled: 1-line block ×3, first 2 shown]
	v_mbcnt_lo_u32_b32 v3, v1, 0
	v_mbcnt_hi_u32_b32 v20, v2, v3
	v_cmp_ne_u64_e32 vcc, 0, v[1:2]
	v_cmp_eq_u32_e64 s[2:3], 0, v20
	v_and_b32_e32 v21, 0x1c0, v0
	s_and_b64 s[4:5], vcc, s[2:3]
	; wave barrier
	s_and_saveexec_b64 s[2:3], s[4:5]
	s_cbranch_execz .LBB32_21
; %bb.20:
	v_bcnt_u32_b32 v1, v1, 0
	v_bcnt_u32_b32 v1, v2, v1
	s_waitcnt lgkmcnt(0)
	v_add_u32_e32 v1, v13, v1
	ds_write_b32 v14, v1 offset:32
.LBB32_21:
	s_or_b64 exec, exec, s[2:3]
	; wave barrier
	s_waitcnt lgkmcnt(0)
	s_barrier
	ds_read2_b64 v[1:4], v15 offset0:4 offset1:5
	v_or_b32_e32 v21, 63, v21
	v_cmp_eq_u32_e32 vcc, v0, v21
	v_cmp_ne_u32_e64 s[2:3], 0, v18
	v_bfe_i32 v23, v16, 4, 1
	s_waitcnt lgkmcnt(0)
	v_add_u32_e32 v21, v2, v1
	v_add3_u32 v4, v21, v3, v4
	v_mul_i32_i24_e32 v22, -12, v0
	v_and_b32_e32 v19, 28, v19
	v_mov_b32_dpp v21, v4 row_shr:1 row_mask:0xf bank_mask:0xf
	v_cndmask_b32_e64 v21, 0, v21, s[2:3]
	v_add_u32_e32 v4, v21, v4
	v_cmp_lt_u32_e64 s[2:3], 1, v18
	s_nop 0
	v_mov_b32_dpp v21, v4 row_shr:2 row_mask:0xf bank_mask:0xf
	v_cndmask_b32_e64 v21, 0, v21, s[2:3]
	v_add_u32_e32 v4, v4, v21
	v_cmp_lt_u32_e64 s[2:3], 3, v18
	s_nop 0
	v_mov_b32_dpp v21, v4 row_shr:4 row_mask:0xf bank_mask:0xf
	v_cndmask_b32_e64 v21, 0, v21, s[2:3]
	v_add_u32_e32 v4, v4, v21
	v_cmp_lt_u32_e64 s[2:3], 7, v18
	s_nop 0
	v_mov_b32_dpp v21, v4 row_shr:8 row_mask:0xf bank_mask:0xf
	v_cndmask_b32_e64 v18, 0, v21, s[2:3]
	v_add_u32_e32 v4, v4, v18
	v_cmp_lt_u32_e64 s[2:3], 31, v16
	s_nop 0
	v_mov_b32_dpp v18, v4 row_bcast:15 row_mask:0xf bank_mask:0xf
	v_and_b32_e32 v18, v23, v18
	v_add_u32_e32 v4, v4, v18
	s_nop 1
	v_mov_b32_dpp v18, v4 row_bcast:31 row_mask:0xf bank_mask:0xf
	v_cndmask_b32_e64 v18, 0, v18, s[2:3]
	v_add_u32_e32 v4, v4, v18
	s_and_saveexec_b64 s[2:3], vcc
; %bb.22:
	ds_write_b32 v19, v4
; %bb.23:
	s_or_b64 exec, exec, s[2:3]
	v_cmp_gt_u32_e32 vcc, 8, v0
	v_add_u32_e32 v22, v15, v22
	s_waitcnt lgkmcnt(0)
	s_barrier
	s_and_saveexec_b64 s[2:3], vcc
	s_cbranch_execz .LBB32_25
; %bb.24:
	ds_read_b32 v18, v22
	v_and_b32_e32 v21, 7, v16
	v_cmp_ne_u32_e32 vcc, 0, v21
	s_waitcnt lgkmcnt(0)
	v_mov_b32_dpp v23, v18 row_shr:1 row_mask:0xf bank_mask:0xf
	v_cndmask_b32_e32 v23, 0, v23, vcc
	v_add_u32_e32 v18, v23, v18
	v_cmp_lt_u32_e32 vcc, 1, v21
	s_nop 0
	v_mov_b32_dpp v23, v18 row_shr:2 row_mask:0xf bank_mask:0xf
	v_cndmask_b32_e32 v23, 0, v23, vcc
	v_add_u32_e32 v18, v18, v23
	v_cmp_lt_u32_e32 vcc, 3, v21
	s_nop 0
	v_mov_b32_dpp v23, v18 row_shr:4 row_mask:0xf bank_mask:0xf
	v_cndmask_b32_e32 v21, 0, v23, vcc
	v_add_u32_e32 v18, v18, v21
	ds_write_b32 v22, v18
.LBB32_25:
	s_or_b64 exec, exec, s[2:3]
	v_cmp_lt_u32_e32 vcc, 63, v0
	v_mov_b32_e32 v18, 0
	s_waitcnt lgkmcnt(0)
	s_barrier
	s_and_saveexec_b64 s[2:3], vcc
; %bb.26:
	v_add_u32_e32 v18, -4, v19
	ds_read_b32 v18, v18
; %bb.27:
	s_or_b64 exec, exec, s[2:3]
	v_subrev_co_u32_e32 v19, vcc, 1, v16
	v_cmp_lt_i32_e64 s[2:3], v19, v17
	v_cndmask_b32_e64 v16, v19, v16, s[2:3]
	v_lshlrev_b32_e32 v16, 2, v16
	s_waitcnt lgkmcnt(0)
	v_add_u32_e32 v4, v18, v4
	ds_bpermute_b32 v4, v16, v4
	v_cndmask_b32_e64 v7, v8, v7, s[0:1]
	v_cndmask_b32_e64 v5, v6, v5, s[0:1]
	s_mov_b32 s0, 0xc0c0004
	s_waitcnt lgkmcnt(0)
	v_cndmask_b32_e32 v4, v4, v18, vcc
	v_cmp_ne_u32_e32 vcc, 0, v0
	v_cndmask_b32_e32 v16, 0, v4, vcc
	v_add_u32_e32 v17, v16, v1
	v_add_u32_e32 v1, v17, v2
	;; [unrolled: 1-line block ×3, first 2 shown]
	ds_write2_b64 v15, v[16:17], v[1:2] offset0:4 offset1:5
	s_waitcnt lgkmcnt(0)
	s_barrier
	ds_read_b32 v1, v14 offset:32
	ds_read_b32 v2, v10 offset:32
	s_waitcnt lgkmcnt(0)
	s_barrier
	v_add3_u32 v1, v20, v13, v1
	v_add_u32_e32 v2, v2, v11
	ds_write_b8 v2, v9
	ds_write_b8 v1, v12
	s_waitcnt lgkmcnt(0)
	s_barrier
	ds_read_u8 v3, v0 offset:512
	ds_read_u8 v4, v0
	v_lshlrev_b32_e32 v2, 2, v2
	v_lshlrev_b32_e32 v1, 2, v1
	s_waitcnt lgkmcnt(0)
	s_barrier
	v_perm_b32 v3, v4, v3, s0
	ds_write_b32 v2, v5
	ds_write_b32 v1, v7
	s_waitcnt lgkmcnt(0)
	s_barrier
.LBB32_28:
	v_lshlrev_b32_e32 v1, 2, v0
	ds_read_b32 v2, v22
	ds_read_b32 v4, v1 offset:2048
	v_lshrrev_b16_e32 v5, 8, v3
	global_store_byte v0, v3, s[36:37]
	global_store_byte v0, v5, s[36:37] offset:512
	s_waitcnt lgkmcnt(1)
	global_store_dword v1, v2, s[38:39]
	s_waitcnt lgkmcnt(0)
	global_store_dword v1, v4, s[38:39] offset:2048
	s_endpgm
	.section	.rodata,"a",@progbits
	.p2align	6, 0x0
	.amdhsa_kernel _Z21sort_key_value_kernelILj512ELj2ELb1ELb0EhiEvPT3_PT4_jj
		.amdhsa_group_segment_fixed_size 8224
		.amdhsa_private_segment_fixed_size 0
		.amdhsa_kernarg_size 280
		.amdhsa_user_sgpr_count 6
		.amdhsa_user_sgpr_private_segment_buffer 1
		.amdhsa_user_sgpr_dispatch_ptr 0
		.amdhsa_user_sgpr_queue_ptr 0
		.amdhsa_user_sgpr_kernarg_segment_ptr 1
		.amdhsa_user_sgpr_dispatch_id 0
		.amdhsa_user_sgpr_flat_scratch_init 0
		.amdhsa_user_sgpr_private_segment_size 0
		.amdhsa_uses_dynamic_stack 0
		.amdhsa_system_sgpr_private_segment_wavefront_offset 0
		.amdhsa_system_sgpr_workgroup_id_x 1
		.amdhsa_system_sgpr_workgroup_id_y 0
		.amdhsa_system_sgpr_workgroup_id_z 0
		.amdhsa_system_sgpr_workgroup_info 0
		.amdhsa_system_vgpr_workitem_id 2
		.amdhsa_next_free_vgpr 41
		.amdhsa_next_free_sgpr 46
		.amdhsa_reserve_vcc 1
		.amdhsa_reserve_flat_scratch 0
		.amdhsa_float_round_mode_32 0
		.amdhsa_float_round_mode_16_64 0
		.amdhsa_float_denorm_mode_32 3
		.amdhsa_float_denorm_mode_16_64 3
		.amdhsa_dx10_clamp 1
		.amdhsa_ieee_mode 1
		.amdhsa_fp16_overflow 0
		.amdhsa_exception_fp_ieee_invalid_op 0
		.amdhsa_exception_fp_denorm_src 0
		.amdhsa_exception_fp_ieee_div_zero 0
		.amdhsa_exception_fp_ieee_overflow 0
		.amdhsa_exception_fp_ieee_underflow 0
		.amdhsa_exception_fp_ieee_inexact 0
		.amdhsa_exception_int_div_zero 0
	.end_amdhsa_kernel
	.section	.text._Z21sort_key_value_kernelILj512ELj2ELb1ELb0EhiEvPT3_PT4_jj,"axG",@progbits,_Z21sort_key_value_kernelILj512ELj2ELb1ELb0EhiEvPT3_PT4_jj,comdat
.Lfunc_end32:
	.size	_Z21sort_key_value_kernelILj512ELj2ELb1ELb0EhiEvPT3_PT4_jj, .Lfunc_end32-_Z21sort_key_value_kernelILj512ELj2ELb1ELb0EhiEvPT3_PT4_jj
                                        ; -- End function
	.set _Z21sort_key_value_kernelILj512ELj2ELb1ELb0EhiEvPT3_PT4_jj.num_vgpr, 41
	.set _Z21sort_key_value_kernelILj512ELj2ELb1ELb0EhiEvPT3_PT4_jj.num_agpr, 0
	.set _Z21sort_key_value_kernelILj512ELj2ELb1ELb0EhiEvPT3_PT4_jj.numbered_sgpr, 46
	.set _Z21sort_key_value_kernelILj512ELj2ELb1ELb0EhiEvPT3_PT4_jj.num_named_barrier, 0
	.set _Z21sort_key_value_kernelILj512ELj2ELb1ELb0EhiEvPT3_PT4_jj.private_seg_size, 0
	.set _Z21sort_key_value_kernelILj512ELj2ELb1ELb0EhiEvPT3_PT4_jj.uses_vcc, 1
	.set _Z21sort_key_value_kernelILj512ELj2ELb1ELb0EhiEvPT3_PT4_jj.uses_flat_scratch, 0
	.set _Z21sort_key_value_kernelILj512ELj2ELb1ELb0EhiEvPT3_PT4_jj.has_dyn_sized_stack, 0
	.set _Z21sort_key_value_kernelILj512ELj2ELb1ELb0EhiEvPT3_PT4_jj.has_recursion, 0
	.set _Z21sort_key_value_kernelILj512ELj2ELb1ELb0EhiEvPT3_PT4_jj.has_indirect_call, 0
	.section	.AMDGPU.csdata,"",@progbits
; Kernel info:
; codeLenInByte = 3724
; TotalNumSgprs: 50
; NumVgprs: 41
; ScratchSize: 0
; MemoryBound: 0
; FloatMode: 240
; IeeeMode: 1
; LDSByteSize: 8224 bytes/workgroup (compile time only)
; SGPRBlocks: 6
; VGPRBlocks: 10
; NumSGPRsForWavesPerEU: 50
; NumVGPRsForWavesPerEU: 41
; Occupancy: 5
; WaveLimiterHint : 1
; COMPUTE_PGM_RSRC2:SCRATCH_EN: 0
; COMPUTE_PGM_RSRC2:USER_SGPR: 6
; COMPUTE_PGM_RSRC2:TRAP_HANDLER: 0
; COMPUTE_PGM_RSRC2:TGID_X_EN: 1
; COMPUTE_PGM_RSRC2:TGID_Y_EN: 0
; COMPUTE_PGM_RSRC2:TGID_Z_EN: 0
; COMPUTE_PGM_RSRC2:TIDIG_COMP_CNT: 2
	.section	.text._Z21sort_key_value_kernelILj162ELj2ELb1ELb1EjsEvPT3_PT4_jj,"axG",@progbits,_Z21sort_key_value_kernelILj162ELj2ELb1ELb1EjsEvPT3_PT4_jj,comdat
	.protected	_Z21sort_key_value_kernelILj162ELj2ELb1ELb1EjsEvPT3_PT4_jj ; -- Begin function _Z21sort_key_value_kernelILj162ELj2ELb1ELb1EjsEvPT3_PT4_jj
	.globl	_Z21sort_key_value_kernelILj162ELj2ELb1ELb1EjsEvPT3_PT4_jj
	.p2align	8
	.type	_Z21sort_key_value_kernelILj162ELj2ELb1ELb1EjsEvPT3_PT4_jj,@function
_Z21sort_key_value_kernelILj162ELj2ELb1ELb1EjsEvPT3_PT4_jj: ; @_Z21sort_key_value_kernelILj162ELj2ELb1ELb1EjsEvPT3_PT4_jj
; %bb.0:
	s_load_dwordx4 s[0:3], s[4:5], 0x0
	s_load_dwordx2 s[42:43], s[4:5], 0x10
	s_mul_i32 s4, s6, 0x144
	s_mov_b32 s5, 0
	s_lshl_b64 s[6:7], s[4:5], 2
	s_waitcnt lgkmcnt(0)
	s_add_u32 s38, s0, s6
	s_addc_u32 s39, s1, s7
	s_lshl_b64 s[0:1], s[4:5], 1
	v_lshlrev_b32_e32 v1, 3, v0
	s_add_u32 s40, s2, s0
	global_load_dwordx2 v[1:2], v1, s[38:39]
	s_addc_u32 s41, s3, s1
	v_lshlrev_b32_e32 v11, 2, v0
	global_load_dword v18, v11, s[40:41]
	v_mbcnt_lo_u32_b32 v3, -1, 0
	v_mbcnt_hi_u32_b32 v3, -1, v3
	s_cmp_eq_u32 s42, 0
	s_movk_i32 s8, 0xffe4
	v_lshlrev_b32_e32 v12, 5, v0
	v_and_b32_e32 v4, 0xc0, v0
	v_subrev_co_u32_e64 v8, s[6:7], 1, v3
	v_and_b32_e32 v9, 64, v3
	s_cselect_b64 s[24:25], -1, 0
	s_cmp_eq_u32 s43, 32
	v_lshrrev_b32_e32 v5, 4, v0
	v_min_u32_e32 v4, 0x62, v4
	v_mad_i32_i24 v14, v0, s8, v12
	v_cmp_lt_i32_e32 vcc, v8, v9
	s_cselect_b64 s[26:27], -1, 0
	v_and_b32_e32 v6, 15, v3
	v_and_b32_e32 v7, 16, v3
	v_cmp_lt_u32_e64 s[4:5], 31, v3
	v_and_b32_e32 v13, 12, v5
	v_and_b32_e32 v5, 3, v3
	v_sub_u32_e32 v10, 0, v11
	v_add_u32_e32 v4, 63, v4
	v_cndmask_b32_e32 v3, v8, v3, vcc
	v_add_u32_e32 v15, v14, v11
	s_and_b64 s[24:25], s[24:25], s[26:27]
	s_movk_i32 s33, 0x144
	v_cmp_gt_u32_e64 s[0:1], 3, v0
	v_cmp_lt_u32_e64 s[2:3], 63, v0
	v_cmp_eq_u32_e64 s[8:9], 0, v6
	v_cmp_lt_u32_e64 s[10:11], 1, v6
	v_cmp_lt_u32_e64 s[12:13], 3, v6
	;; [unrolled: 1-line block ×3, first 2 shown]
	v_cmp_eq_u32_e64 s[16:17], 0, v7
	v_cmp_eq_u32_e64 s[18:19], 0, v5
	v_cmp_lt_u32_e64 s[20:21], 1, v5
	v_cmp_eq_u32_e64 s[22:23], v0, v4
	v_lshlrev_b32_e32 v16, 2, v3
	v_add_u32_e32 v17, v15, v10
	s_and_b64 vcc, exec, s[24:25]
	s_waitcnt vmcnt(1)
	v_not_b32_e32 v9, v1
	v_not_b32_e32 v10, v2
	s_cbranch_vccnz .LBB33_18
; %bb.1:
	s_movk_i32 s24, 0x3cc
	s_movk_i32 s26, 0x32a
	;; [unrolled: 1-line block ×4, first 2 shown]
	v_cmp_gt_u32_e64 s[34:35], s33, v0
	s_movk_i32 s33, 0xa2
	v_cmp_gt_u32_e64 s[24:25], s24, v0
	v_cmp_gt_u32_e64 s[26:27], s26, v0
	v_cmp_gt_u32_e64 s[28:29], s28, v0
	v_cmp_gt_u32_e64 s[30:31], s30, v0
	v_cmp_gt_u32_e64 s[36:37], s33, v0
	s_sub_i32 s46, s43, s42
	v_mov_b32_e32 v20, 0
	s_waitcnt vmcnt(0)
	v_mov_b32_e32 v7, v18
	v_mov_b32_e32 v1, v9
	;; [unrolled: 1-line block ×3, first 2 shown]
	s_branch .LBB33_3
.LBB33_2:                               ;   in Loop: Header=BB33_3 Depth=1
	s_andn2_b64 vcc, exec, s[44:45]
	s_mov_b32 s46, s47
	s_cbranch_vccz .LBB33_19
.LBB33_3:                               ; =>This Inner Loop Header: Depth=1
	v_mov_b32_e32 v21, v2
	v_mov_b32_e32 v22, v1
	;; [unrolled: 1-line block ×3, first 2 shown]
	ds_write2_b32 v11, v20, v20 offset1:162
	s_and_saveexec_b64 s[44:45], s[24:25]
	s_cbranch_execz .LBB33_10
; %bb.4:                                ;   in Loop: Header=BB33_3 Depth=1
	ds_write_b32 v11, v20 offset:1296
	s_and_b64 exec, exec, s[26:27]
	s_cbranch_execz .LBB33_10
; %bb.5:                                ;   in Loop: Header=BB33_3 Depth=1
	ds_write_b32 v11, v20 offset:1944
	s_and_b64 exec, exec, s[28:29]
	;; [unrolled: 4-line block ×5, first 2 shown]
; %bb.9:                                ;   in Loop: Header=BB33_3 Depth=1
	ds_write_b32 v11, v20 offset:4536
.LBB33_10:                              ;   in Loop: Header=BB33_3 Depth=1
	s_or_b64 exec, exec, s[44:45]
	s_min_u32 s44, s46, 4
	s_lshl_b32 s44, -1, s44
	s_not_b32 s44, s44
	v_lshrrev_b32_e32 v1, s42, v22
	v_and_b32_e32 v1, s44, v1
	v_and_b32_e32 v2, 7, v1
	v_lshrrev_b32_e32 v1, 2, v1
	v_mad_u32_u24 v2, v2, s33, v0
	v_and_b32_e32 v1, 30, v1
	v_lshl_add_u32 v24, v2, 2, v1
	ds_read_u16 v23, v24
	v_lshrrev_b32_e32 v1, s42, v21
	v_and_b32_e32 v1, s44, v1
	s_waitcnt lgkmcnt(0)
	v_add_u16_e32 v2, 1, v23
	ds_write_b16 v24, v2
	v_and_b32_e32 v2, 7, v1
	v_lshrrev_b32_e32 v1, 2, v1
	v_mad_u32_u24 v2, v2, s33, v0
	v_and_b32_e32 v1, 30, v1
	v_lshl_add_u32 v26, v2, 2, v1
	ds_read_u16 v25, v26
	s_waitcnt lgkmcnt(0)
	v_add_u16_e32 v1, 1, v25
	ds_write_b16 v26, v1
	s_waitcnt lgkmcnt(0)
	s_barrier
	ds_read2_b64 v[5:8], v12 offset1:1
	ds_read2_b64 v[1:4], v12 offset0:2 offset1:3
	s_waitcnt lgkmcnt(1)
	v_add_u32_e32 v27, v6, v5
	v_add3_u32 v27, v27, v7, v8
	s_waitcnt lgkmcnt(0)
	v_add3_u32 v27, v27, v1, v2
	v_add3_u32 v4, v27, v3, v4
	s_nop 1
	v_mov_b32_dpp v27, v4 row_shr:1 row_mask:0xf bank_mask:0xf
	v_cndmask_b32_e64 v27, v27, 0, s[8:9]
	v_add_u32_e32 v4, v27, v4
	s_nop 1
	v_mov_b32_dpp v27, v4 row_shr:2 row_mask:0xf bank_mask:0xf
	v_cndmask_b32_e64 v27, 0, v27, s[10:11]
	v_add_u32_e32 v4, v4, v27
	;; [unrolled: 4-line block ×4, first 2 shown]
	s_nop 1
	v_mov_b32_dpp v27, v4 row_bcast:15 row_mask:0xf bank_mask:0xf
	v_cndmask_b32_e64 v27, v27, 0, s[16:17]
	v_add_u32_e32 v4, v4, v27
	s_nop 1
	v_mov_b32_dpp v27, v4 row_bcast:31 row_mask:0xf bank_mask:0xf
	v_cndmask_b32_e64 v27, 0, v27, s[4:5]
	v_add_u32_e32 v4, v4, v27
	s_and_saveexec_b64 s[44:45], s[22:23]
; %bb.11:                               ;   in Loop: Header=BB33_3 Depth=1
	ds_write_b32 v13, v4 offset:5184
; %bb.12:                               ;   in Loop: Header=BB33_3 Depth=1
	s_or_b64 exec, exec, s[44:45]
	s_waitcnt lgkmcnt(0)
	s_barrier
	s_and_saveexec_b64 s[44:45], s[0:1]
	s_cbranch_execz .LBB33_14
; %bb.13:                               ;   in Loop: Header=BB33_3 Depth=1
	ds_read_b32 v27, v14 offset:5184
	s_waitcnt lgkmcnt(0)
	s_nop 0
	v_mov_b32_dpp v28, v27 row_shr:1 row_mask:0xf bank_mask:0xf
	v_cndmask_b32_e64 v28, v28, 0, s[18:19]
	v_add_u32_e32 v27, v28, v27
	s_nop 1
	v_mov_b32_dpp v28, v27 row_shr:2 row_mask:0xf bank_mask:0xf
	v_cndmask_b32_e64 v28, 0, v28, s[20:21]
	v_add_u32_e32 v27, v27, v28
	ds_write_b32 v14, v27 offset:5184
.LBB33_14:                              ;   in Loop: Header=BB33_3 Depth=1
	s_or_b64 exec, exec, s[44:45]
	v_mov_b32_e32 v27, 0
	s_waitcnt lgkmcnt(0)
	s_barrier
	s_and_saveexec_b64 s[44:45], s[2:3]
; %bb.15:                               ;   in Loop: Header=BB33_3 Depth=1
	ds_read_b32 v27, v13 offset:5180
; %bb.16:                               ;   in Loop: Header=BB33_3 Depth=1
	s_or_b64 exec, exec, s[44:45]
	s_waitcnt lgkmcnt(0)
	v_add_u32_e32 v4, v27, v4
	ds_bpermute_b32 v4, v16, v4
	ds_read_b32 v28, v20 offset:5192
	s_add_i32 s42, s42, 4
	s_cmp_ge_u32 s42, s43
	s_mov_b64 s[44:45], -1
	s_waitcnt lgkmcnt(1)
	v_cndmask_b32_e64 v4, v4, v27, s[6:7]
	s_waitcnt lgkmcnt(0)
	v_lshl_add_u32 v4, v28, 16, v4
	v_add_u32_e32 v5, v4, v5
	v_add_u32_e32 v6, v5, v6
	;; [unrolled: 1-line block ×7, first 2 shown]
	ds_write2_b64 v12, v[4:5], v[6:7] offset1:1
	ds_write2_b64 v12, v[27:28], v[1:2] offset0:2 offset1:3
	s_waitcnt lgkmcnt(0)
	s_barrier
	ds_read_u16 v1, v24
	ds_read_u16 v2, v26
	v_readfirstlane_b32 s47, v0
	s_waitcnt lgkmcnt(0)
                                        ; implicit-def: $vgpr7
	v_add_u32_sdwa v4, v1, v23 dst_sel:DWORD dst_unused:UNUSED_PAD src0_sel:DWORD src1_sel:WORD_0
	v_add_u32_sdwa v3, v2, v25 dst_sel:DWORD dst_unused:UNUSED_PAD src0_sel:DWORD src1_sel:WORD_0
	v_lshlrev_b32_e32 v6, 2, v4
	v_lshlrev_b32_e32 v5, 2, v3
                                        ; implicit-def: $vgpr2
	s_cbranch_scc1 .LBB33_2
; %bb.17:                               ;   in Loop: Header=BB33_3 Depth=1
	v_lshlrev_b32_e32 v7, 1, v4
	v_sub_u32_e32 v7, v6, v7
	s_barrier
	ds_write_b32 v6, v22
	ds_write_b32 v5, v21
	s_waitcnt lgkmcnt(0)
	s_barrier
	ds_read_b64 v[1:2], v15
	s_waitcnt lgkmcnt(0)
	s_barrier
	ds_write_b16 v7, v19
	v_lshlrev_b32_e32 v7, 1, v3
	v_sub_u32_e32 v7, v5, v7
	ds_write_b16_d16_hi v7, v19
	s_waitcnt lgkmcnt(0)
	s_barrier
	ds_read_b32 v7, v17
	s_add_i32 s47, s46, -4
	s_mov_b64 s[44:45], 0
	s_waitcnt lgkmcnt(0)
	s_barrier
	s_branch .LBB33_2
.LBB33_18:
                                        ; implicit-def: $vgpr2
	s_cbranch_execnz .LBB33_20
	s_branch .LBB33_38
.LBB33_19:
	s_barrier
	ds_write_b32 v6, v22
	ds_write_b32 v5, v21
	s_waitcnt lgkmcnt(0)
	s_barrier
	ds_read2_b32 v[1:2], v11 offset1:162
	v_lshlrev_b32_e32 v4, 1, v4
	v_lshlrev_b32_e32 v3, 1, v3
	v_sub_u32_e32 v4, v6, v4
	v_sub_u32_e32 v3, v5, v3
	s_waitcnt lgkmcnt(0)
	s_barrier
	ds_write_b16 v4, v19
	ds_write_b16_d16_hi v3, v19
	s_waitcnt lgkmcnt(0)
	s_barrier
	s_branch .LBB33_38
.LBB33_20:
	s_movk_i32 s33, 0x144
	s_movk_i32 s24, 0x3cc
	;; [unrolled: 1-line block ×5, first 2 shown]
	v_cmp_gt_u32_e64 s[34:35], s33, v0
	s_movk_i32 s33, 0xa2
	v_cmp_gt_u32_e64 s[24:25], s24, v0
	v_cmp_gt_u32_e64 s[26:27], s26, v0
	;; [unrolled: 1-line block ×5, first 2 shown]
	v_mov_b32_e32 v21, 0
	v_mov_b32_e32 v22, 0
	s_branch .LBB33_22
.LBB33_21:                              ;   in Loop: Header=BB33_22 Depth=1
	s_andn2_b64 vcc, exec, s[42:43]
	s_cbranch_vccz .LBB33_37
.LBB33_22:                              ; =>This Inner Loop Header: Depth=1
	v_mov_b32_e32 v20, v10
	v_mov_b32_e32 v23, v9
	s_waitcnt vmcnt(0)
	v_mov_b32_e32 v19, v18
	ds_write2_b32 v17, v21, v21 offset1:162
	s_and_saveexec_b64 s[42:43], s[24:25]
	s_cbranch_execz .LBB33_29
; %bb.23:                               ;   in Loop: Header=BB33_22 Depth=1
	ds_write_b32 v17, v21 offset:1296
	s_and_b64 exec, exec, s[26:27]
	s_cbranch_execz .LBB33_29
; %bb.24:                               ;   in Loop: Header=BB33_22 Depth=1
	ds_write_b32 v17, v21 offset:1944
	s_and_b64 exec, exec, s[28:29]
	;; [unrolled: 4-line block ×5, first 2 shown]
; %bb.28:                               ;   in Loop: Header=BB33_22 Depth=1
	ds_write_b32 v17, v21 offset:4536
.LBB33_29:                              ;   in Loop: Header=BB33_22 Depth=1
	s_or_b64 exec, exec, s[42:43]
	v_lshrrev_b32_e32 v1, v22, v23
	v_bfe_u32 v2, v23, v22, 3
	v_lshrrev_b32_e32 v1, 2, v1
	v_mad_u32_u24 v2, v2, s33, v0
	v_and_b32_e32 v1, 2, v1
	v_lshl_or_b32 v10, v2, 2, v1
	ds_read_u16 v9, v10
	v_lshrrev_b32_e32 v1, v22, v20
	v_bfe_u32 v2, v20, v22, 3
	v_lshrrev_b32_e32 v1, 2, v1
	v_mad_u32_u24 v2, v2, s33, v0
	s_waitcnt lgkmcnt(0)
	v_add_u16_e32 v3, 1, v9
	v_and_b32_e32 v1, 2, v1
	ds_write_b16 v10, v3
	v_lshl_or_b32 v24, v2, 2, v1
	ds_read_u16 v18, v24
	s_waitcnt lgkmcnt(0)
	v_add_u16_e32 v1, 1, v18
	ds_write_b16 v24, v1
	s_waitcnt lgkmcnt(0)
	s_barrier
	ds_read2_b64 v[5:8], v12 offset1:1
	ds_read2_b64 v[1:4], v12 offset0:2 offset1:3
	s_waitcnt lgkmcnt(1)
	v_add_u32_e32 v25, v6, v5
	v_add3_u32 v25, v25, v7, v8
	s_waitcnt lgkmcnt(0)
	v_add3_u32 v25, v25, v1, v2
	v_add3_u32 v4, v25, v3, v4
	s_nop 1
	v_mov_b32_dpp v25, v4 row_shr:1 row_mask:0xf bank_mask:0xf
	v_cndmask_b32_e64 v25, v25, 0, s[8:9]
	v_add_u32_e32 v4, v25, v4
	s_nop 1
	v_mov_b32_dpp v25, v4 row_shr:2 row_mask:0xf bank_mask:0xf
	v_cndmask_b32_e64 v25, 0, v25, s[10:11]
	v_add_u32_e32 v4, v4, v25
	;; [unrolled: 4-line block ×4, first 2 shown]
	s_nop 1
	v_mov_b32_dpp v25, v4 row_bcast:15 row_mask:0xf bank_mask:0xf
	v_cndmask_b32_e64 v25, v25, 0, s[16:17]
	v_add_u32_e32 v4, v4, v25
	s_nop 1
	v_mov_b32_dpp v25, v4 row_bcast:31 row_mask:0xf bank_mask:0xf
	v_cndmask_b32_e64 v25, 0, v25, s[4:5]
	v_add_u32_e32 v4, v4, v25
	s_and_saveexec_b64 s[42:43], s[22:23]
; %bb.30:                               ;   in Loop: Header=BB33_22 Depth=1
	ds_write_b32 v13, v4 offset:5184
; %bb.31:                               ;   in Loop: Header=BB33_22 Depth=1
	s_or_b64 exec, exec, s[42:43]
	s_waitcnt lgkmcnt(0)
	s_barrier
	s_and_saveexec_b64 s[42:43], s[0:1]
	s_cbranch_execz .LBB33_33
; %bb.32:                               ;   in Loop: Header=BB33_22 Depth=1
	ds_read_b32 v25, v14 offset:5184
	s_waitcnt lgkmcnt(0)
	s_nop 0
	v_mov_b32_dpp v26, v25 row_shr:1 row_mask:0xf bank_mask:0xf
	v_cndmask_b32_e64 v26, v26, 0, s[18:19]
	v_add_u32_e32 v25, v26, v25
	s_nop 1
	v_mov_b32_dpp v26, v25 row_shr:2 row_mask:0xf bank_mask:0xf
	v_cndmask_b32_e64 v26, 0, v26, s[20:21]
	v_add_u32_e32 v25, v25, v26
	ds_write_b32 v14, v25 offset:5184
.LBB33_33:                              ;   in Loop: Header=BB33_22 Depth=1
	s_or_b64 exec, exec, s[42:43]
	v_mov_b32_e32 v25, 0
	s_waitcnt lgkmcnt(0)
	s_barrier
	s_and_saveexec_b64 s[42:43], s[2:3]
; %bb.34:                               ;   in Loop: Header=BB33_22 Depth=1
	ds_read_b32 v25, v13 offset:5180
; %bb.35:                               ;   in Loop: Header=BB33_22 Depth=1
	s_or_b64 exec, exec, s[42:43]
	s_waitcnt lgkmcnt(0)
	v_add_u32_e32 v4, v25, v4
	ds_bpermute_b32 v4, v16, v4
	ds_read_b32 v26, v21 offset:5192
	v_cmp_lt_u32_e32 vcc, 27, v22
	s_and_b64 vcc, exec, vcc
	s_mov_b64 s[42:43], -1
	s_waitcnt lgkmcnt(1)
	v_cndmask_b32_e64 v4, v4, v25, s[6:7]
	s_waitcnt lgkmcnt(0)
	v_lshl_add_u32 v4, v26, 16, v4
	v_add_u32_e32 v5, v4, v5
	v_add_u32_e32 v6, v5, v6
	;; [unrolled: 1-line block ×7, first 2 shown]
	ds_write2_b64 v12, v[4:5], v[6:7] offset1:1
	ds_write2_b64 v12, v[25:26], v[1:2] offset0:2 offset1:3
	s_waitcnt lgkmcnt(0)
	s_barrier
	ds_read_u16 v1, v10
	ds_read_u16 v2, v24
	s_waitcnt lgkmcnt(1)
	v_add_u32_sdwa v4, v1, v9 dst_sel:DWORD dst_unused:UNUSED_PAD src0_sel:DWORD src1_sel:WORD_0
	s_waitcnt lgkmcnt(0)
	v_add_u32_sdwa v3, v2, v18 dst_sel:DWORD dst_unused:UNUSED_PAD src0_sel:DWORD src1_sel:WORD_0
                                        ; implicit-def: $vgpr10
                                        ; implicit-def: $vgpr18
	s_cbranch_vccnz .LBB33_21
; %bb.36:                               ;   in Loop: Header=BB33_22 Depth=1
	v_lshlrev_b32_e32 v1, 2, v4
	v_lshlrev_b32_e32 v5, 1, v4
	s_barrier
	ds_write_b32 v1, v23
	v_lshlrev_b32_e32 v2, 2, v3
	v_sub_u32_e32 v1, v1, v5
	ds_write_b32 v2, v20
	s_waitcnt lgkmcnt(0)
	s_barrier
	ds_read_b64 v[9:10], v15
	s_waitcnt lgkmcnt(0)
	s_barrier
	ds_write_b16 v1, v19
	v_lshlrev_b32_e32 v1, 1, v3
	v_sub_u32_e32 v1, v2, v1
	ds_write_b16_d16_hi v1, v19
	s_waitcnt lgkmcnt(0)
	s_barrier
	ds_read_b32 v18, v17
	v_add_u32_e32 v22, 4, v22
	s_mov_b64 s[42:43], 0
	s_waitcnt lgkmcnt(0)
	s_barrier
	s_branch .LBB33_21
.LBB33_37:
	v_lshlrev_b32_e32 v5, 2, v4
	v_lshlrev_b32_e32 v6, 2, v3
	s_barrier
	ds_write_b32 v5, v23
	ds_write_b32 v6, v20
	s_waitcnt lgkmcnt(0)
	s_barrier
	ds_read2_b32 v[1:2], v11 offset1:162
	v_lshlrev_b32_e32 v4, 1, v4
	v_lshlrev_b32_e32 v3, 1, v3
	v_sub_u32_e32 v4, v5, v4
	v_sub_u32_e32 v3, v6, v3
	s_waitcnt lgkmcnt(0)
	s_barrier
	ds_write_b16 v4, v19
	ds_write_b16_d16_hi v3, v19
	s_waitcnt lgkmcnt(0)
	s_barrier
.LBB33_38:
	v_lshlrev_b32_e32 v0, 1, v0
	ds_read_u16 v3, v0
	ds_read_u16 v4, v0 offset:324
	v_not_b32_e32 v1, v1
	v_not_b32_e32 v2, v2
	global_store_dword v11, v1, s[38:39]
	global_store_dword v11, v2, s[38:39] offset:648
	s_waitcnt lgkmcnt(1)
	global_store_short v0, v3, s[40:41]
	s_waitcnt lgkmcnt(0)
	global_store_short v0, v4, s[40:41] offset:324
	s_endpgm
	.section	.rodata,"a",@progbits
	.p2align	6, 0x0
	.amdhsa_kernel _Z21sort_key_value_kernelILj162ELj2ELb1ELb1EjsEvPT3_PT4_jj
		.amdhsa_group_segment_fixed_size 5200
		.amdhsa_private_segment_fixed_size 0
		.amdhsa_kernarg_size 24
		.amdhsa_user_sgpr_count 6
		.amdhsa_user_sgpr_private_segment_buffer 1
		.amdhsa_user_sgpr_dispatch_ptr 0
		.amdhsa_user_sgpr_queue_ptr 0
		.amdhsa_user_sgpr_kernarg_segment_ptr 1
		.amdhsa_user_sgpr_dispatch_id 0
		.amdhsa_user_sgpr_flat_scratch_init 0
		.amdhsa_user_sgpr_private_segment_size 0
		.amdhsa_uses_dynamic_stack 0
		.amdhsa_system_sgpr_private_segment_wavefront_offset 0
		.amdhsa_system_sgpr_workgroup_id_x 1
		.amdhsa_system_sgpr_workgroup_id_y 0
		.amdhsa_system_sgpr_workgroup_id_z 0
		.amdhsa_system_sgpr_workgroup_info 0
		.amdhsa_system_vgpr_workitem_id 0
		.amdhsa_next_free_vgpr 29
		.amdhsa_next_free_sgpr 61
		.amdhsa_reserve_vcc 1
		.amdhsa_reserve_flat_scratch 0
		.amdhsa_float_round_mode_32 0
		.amdhsa_float_round_mode_16_64 0
		.amdhsa_float_denorm_mode_32 3
		.amdhsa_float_denorm_mode_16_64 3
		.amdhsa_dx10_clamp 1
		.amdhsa_ieee_mode 1
		.amdhsa_fp16_overflow 0
		.amdhsa_exception_fp_ieee_invalid_op 0
		.amdhsa_exception_fp_denorm_src 0
		.amdhsa_exception_fp_ieee_div_zero 0
		.amdhsa_exception_fp_ieee_overflow 0
		.amdhsa_exception_fp_ieee_underflow 0
		.amdhsa_exception_fp_ieee_inexact 0
		.amdhsa_exception_int_div_zero 0
	.end_amdhsa_kernel
	.section	.text._Z21sort_key_value_kernelILj162ELj2ELb1ELb1EjsEvPT3_PT4_jj,"axG",@progbits,_Z21sort_key_value_kernelILj162ELj2ELb1ELb1EjsEvPT3_PT4_jj,comdat
.Lfunc_end33:
	.size	_Z21sort_key_value_kernelILj162ELj2ELb1ELb1EjsEvPT3_PT4_jj, .Lfunc_end33-_Z21sort_key_value_kernelILj162ELj2ELb1ELb1EjsEvPT3_PT4_jj
                                        ; -- End function
	.set _Z21sort_key_value_kernelILj162ELj2ELb1ELb1EjsEvPT3_PT4_jj.num_vgpr, 29
	.set _Z21sort_key_value_kernelILj162ELj2ELb1ELb1EjsEvPT3_PT4_jj.num_agpr, 0
	.set _Z21sort_key_value_kernelILj162ELj2ELb1ELb1EjsEvPT3_PT4_jj.numbered_sgpr, 48
	.set _Z21sort_key_value_kernelILj162ELj2ELb1ELb1EjsEvPT3_PT4_jj.num_named_barrier, 0
	.set _Z21sort_key_value_kernelILj162ELj2ELb1ELb1EjsEvPT3_PT4_jj.private_seg_size, 0
	.set _Z21sort_key_value_kernelILj162ELj2ELb1ELb1EjsEvPT3_PT4_jj.uses_vcc, 1
	.set _Z21sort_key_value_kernelILj162ELj2ELb1ELb1EjsEvPT3_PT4_jj.uses_flat_scratch, 0
	.set _Z21sort_key_value_kernelILj162ELj2ELb1ELb1EjsEvPT3_PT4_jj.has_dyn_sized_stack, 0
	.set _Z21sort_key_value_kernelILj162ELj2ELb1ELb1EjsEvPT3_PT4_jj.has_recursion, 0
	.set _Z21sort_key_value_kernelILj162ELj2ELb1ELb1EjsEvPT3_PT4_jj.has_indirect_call, 0
	.section	.AMDGPU.csdata,"",@progbits
; Kernel info:
; codeLenInByte = 2492
; TotalNumSgprs: 52
; NumVgprs: 29
; ScratchSize: 0
; MemoryBound: 0
; FloatMode: 240
; IeeeMode: 1
; LDSByteSize: 5200 bytes/workgroup (compile time only)
; SGPRBlocks: 8
; VGPRBlocks: 7
; NumSGPRsForWavesPerEU: 65
; NumVGPRsForWavesPerEU: 29
; Occupancy: 8
; WaveLimiterHint : 1
; COMPUTE_PGM_RSRC2:SCRATCH_EN: 0
; COMPUTE_PGM_RSRC2:USER_SGPR: 6
; COMPUTE_PGM_RSRC2:TRAP_HANDLER: 0
; COMPUTE_PGM_RSRC2:TGID_X_EN: 1
; COMPUTE_PGM_RSRC2:TGID_Y_EN: 0
; COMPUTE_PGM_RSRC2:TGID_Z_EN: 0
; COMPUTE_PGM_RSRC2:TIDIG_COMP_CNT: 0
	.section	.text._Z21sort_key_value_kernelILj102ELj3ELb0ELb1EtiEvPT3_PT4_jj,"axG",@progbits,_Z21sort_key_value_kernelILj102ELj3ELb0ELb1EtiEvPT3_PT4_jj,comdat
	.protected	_Z21sort_key_value_kernelILj102ELj3ELb0ELb1EtiEvPT3_PT4_jj ; -- Begin function _Z21sort_key_value_kernelILj102ELj3ELb0ELb1EtiEvPT3_PT4_jj
	.globl	_Z21sort_key_value_kernelILj102ELj3ELb0ELb1EtiEvPT3_PT4_jj
	.p2align	8
	.type	_Z21sort_key_value_kernelILj102ELj3ELb0ELb1EtiEvPT3_PT4_jj,@function
_Z21sort_key_value_kernelILj102ELj3ELb0ELb1EtiEvPT3_PT4_jj: ; @_Z21sort_key_value_kernelILj102ELj3ELb0ELb1EtiEvPT3_PT4_jj
; %bb.0:
	s_load_dwordx4 s[0:3], s[4:5], 0x0
	s_load_dwordx2 s[44:45], s[4:5], 0x10
	s_mul_i32 s4, s6, 0x132
	s_mov_b32 s5, 0
	s_lshl_b64 s[6:7], s[4:5], 1
	s_waitcnt lgkmcnt(0)
	s_add_u32 s40, s0, s6
	s_addc_u32 s41, s1, s7
	v_mul_u32_u24_e32 v1, 3, v0
	s_lshl_b64 s[0:1], s[4:5], 2
	v_lshlrev_b32_e32 v12, 1, v1
	s_add_u32 s42, s2, s0
	global_load_ushort v2, v12, s[40:41] offset:4
	global_load_dword v3, v12, s[40:41]
	s_addc_u32 s43, s3, s1
	v_lshlrev_b32_e32 v13, 2, v1
	global_load_dwordx3 v[9:11], v13, s[42:43]
	v_mbcnt_lo_u32_b32 v1, -1, 0
	s_movk_i32 s0, 0x330
	v_mbcnt_hi_u32_b32 v1, -1, v1
	s_cmp_eq_u32 s44, 0
	s_movk_i32 s6, 0xffe4
	v_cmp_gt_u32_e64 s[22:23], s0, v0
	v_lshlrev_b32_e32 v17, 5, v0
	v_and_b32_e32 v4, 64, v0
	v_subrev_co_u32_e64 v8, s[0:1], 1, v1
	v_and_b32_e32 v15, 64, v1
	s_cselect_b64 s[24:25], -1, 0
	s_cmp_eq_u32 s45, 16
	v_lshrrev_b32_e32 v5, 4, v0
	v_min_u32_e32 v4, 38, v4
	v_mad_i32_i24 v21, v0, s6, v17
	v_cmp_lt_i32_e32 vcc, v8, v15
	s_cselect_b64 s[26:27], -1, 0
	v_and_b32_e32 v6, 15, v1
	v_and_b32_e32 v7, 16, v1
	v_cmp_lt_u32_e64 s[8:9], 31, v1
	v_and_b32_e32 v19, 4, v5
	v_and_b32_e32 v5, 1, v1
	v_add_u32_e32 v4, 63, v4
	v_cndmask_b32_e32 v1, v8, v1, vcc
	v_lshl_add_u32 v18, v0, 1, v21
	s_and_b64 s[24:25], s[24:25], s[26:27]
	s_movk_i32 s33, 0x132
	v_mov_b32_e32 v14, 0
	v_cmp_gt_u32_e64 s[4:5], 2, v0
	v_cmp_lt_u32_e64 s[2:3], 63, v0
	v_lshlrev_b32_e32 v22, 2, v0
	v_cmp_eq_u32_e64 s[20:21], 0, v6
	v_cmp_lt_u32_e64 s[18:19], 1, v6
	v_cmp_lt_u32_e64 s[16:17], 3, v6
	;; [unrolled: 1-line block ×3, first 2 shown]
	v_cmp_eq_u32_e64 s[10:11], 0, v7
	v_cmp_eq_u32_e64 s[6:7], 0, v5
	;; [unrolled: 1-line block ×3, first 2 shown]
	v_lshlrev_b32_e32 v20, 2, v1
	v_mad_u32_u24 v16, v0, 6, v18
	v_mov_b32_e32 v15, s41
	v_mov_b32_e32 v25, s43
	s_and_b64 vcc, exec, s[24:25]
	s_waitcnt vmcnt(2)
	v_xor_b32_e32 v23, -1, v2
	s_waitcnt vmcnt(1)
	v_xor_b32_e32 v24, -1, v3
	s_cbranch_vccnz .LBB34_20
; %bb.1:
	v_cmp_gt_u32_e64 s[34:35], s33, v0
	s_movk_i32 s33, 0xcc
	s_movk_i32 s24, 0x2ca
	;; [unrolled: 1-line block ×5, first 2 shown]
	v_cmp_gt_u32_e64 s[36:37], s33, v0
	s_movk_i32 s33, 0x66
	v_cmp_gt_u32_e64 s[24:25], s24, v0
	v_cmp_gt_u32_e64 s[26:27], s26, v0
	;; [unrolled: 1-line block ×5, first 2 shown]
	s_sub_i32 s41, s45, s44
	s_waitcnt vmcnt(0)
	v_mov_b32_e32 v1, v9
	v_mov_b32_e32 v2, v10
	;; [unrolled: 1-line block ×5, first 2 shown]
	s_branch .LBB34_3
.LBB34_2:                               ;   in Loop: Header=BB34_3 Depth=1
	s_andn2_b64 vcc, exec, s[46:47]
	s_mov_b32 s41, s43
	s_cbranch_vccz .LBB34_21
.LBB34_3:                               ; =>This Inner Loop Header: Depth=1
	v_mov_b32_e32 v29, v7
	v_mov_b32_e32 v26, v8
	;; [unrolled: 1-line block ×4, first 2 shown]
	s_and_saveexec_b64 s[46:47], s[22:23]
	s_cbranch_execz .LBB34_12
; %bb.4:                                ;   in Loop: Header=BB34_3 Depth=1
	ds_write_b32 v22, v14
	s_and_b64 exec, exec, s[24:25]
	s_cbranch_execz .LBB34_12
; %bb.5:                                ;   in Loop: Header=BB34_3 Depth=1
	ds_write_b32 v22, v14 offset:408
	s_and_b64 exec, exec, s[26:27]
	s_cbranch_execz .LBB34_12
; %bb.6:                                ;   in Loop: Header=BB34_3 Depth=1
	ds_write_b32 v22, v14 offset:816
	;; [unrolled: 4-line block ×5, first 2 shown]
	s_and_b64 exec, exec, s[36:37]
	s_cbranch_execz .LBB34_12
; %bb.10:                               ;   in Loop: Header=BB34_3 Depth=1
	ds_write_b32 v22, v14 offset:2448
	s_and_b64 exec, exec, s[38:39]
; %bb.11:                               ;   in Loop: Header=BB34_3 Depth=1
	ds_write_b32 v22, v14 offset:2856
.LBB34_12:                              ;   in Loop: Header=BB34_3 Depth=1
	s_or_b64 exec, exec, s[46:47]
	s_min_u32 s43, s41, 4
	s_lshl_b32 s43, -1, s43
	s_not_b32 s43, s43
	v_lshrrev_b32_sdwa v1, s44, v30 dst_sel:DWORD dst_unused:UNUSED_PAD src0_sel:DWORD src1_sel:WORD_0
	v_and_b32_e32 v1, s43, v1
	v_and_b32_e32 v2, 7, v1
	v_lshrrev_b32_e32 v1, 2, v1
	v_mad_u32_u24 v2, v2, s33, v0
	v_and_b32_e32 v1, 30, v1
	v_lshl_add_u32 v32, v2, 2, v1
	ds_read_u16 v35, v32
	v_lshrrev_b32_e32 v31, 16, v30
	s_waitcnt lgkmcnt(0)
	v_add_u16_e32 v1, 1, v35
	ds_write_b16 v32, v1
	v_lshrrev_b32_e32 v1, s44, v31
	v_and_b32_e32 v1, s43, v1
	v_and_b32_e32 v2, 7, v1
	v_lshrrev_b32_e32 v1, 2, v1
	v_mad_u32_u24 v2, v2, s33, v0
	v_and_b32_e32 v1, 30, v1
	v_lshl_add_u32 v33, v2, 2, v1
	ds_read_u16 v36, v33
	s_waitcnt lgkmcnt(0)
	v_add_u16_e32 v1, 1, v36
	ds_write_b16 v33, v1
	v_lshrrev_b32_sdwa v1, s44, v29 dst_sel:DWORD dst_unused:UNUSED_PAD src0_sel:DWORD src1_sel:WORD_0
	v_and_b32_e32 v1, s43, v1
	v_and_b32_e32 v2, 7, v1
	v_lshrrev_b32_e32 v1, 2, v1
	v_mad_u32_u24 v2, v2, s33, v0
	v_and_b32_e32 v1, 30, v1
	v_lshl_add_u32 v34, v2, 2, v1
	ds_read_u16 v37, v34
	s_waitcnt lgkmcnt(0)
	v_add_u16_e32 v1, 1, v37
	ds_write_b16 v34, v1
	s_waitcnt lgkmcnt(0)
	s_barrier
	ds_read2_b64 v[5:8], v17 offset1:1
	ds_read2_b64 v[1:4], v17 offset0:2 offset1:3
	s_waitcnt lgkmcnt(1)
	v_add_u32_e32 v38, v6, v5
	v_add3_u32 v38, v38, v7, v8
	s_waitcnt lgkmcnt(0)
	v_add3_u32 v38, v38, v1, v2
	v_add3_u32 v4, v38, v3, v4
	s_nop 1
	v_mov_b32_dpp v38, v4 row_shr:1 row_mask:0xf bank_mask:0xf
	v_cndmask_b32_e64 v38, v38, 0, s[20:21]
	v_add_u32_e32 v4, v38, v4
	s_nop 1
	v_mov_b32_dpp v38, v4 row_shr:2 row_mask:0xf bank_mask:0xf
	v_cndmask_b32_e64 v38, 0, v38, s[18:19]
	v_add_u32_e32 v4, v4, v38
	;; [unrolled: 4-line block ×4, first 2 shown]
	s_nop 1
	v_mov_b32_dpp v38, v4 row_bcast:15 row_mask:0xf bank_mask:0xf
	v_cndmask_b32_e64 v38, v38, 0, s[10:11]
	v_add_u32_e32 v4, v4, v38
	s_nop 1
	v_mov_b32_dpp v38, v4 row_bcast:31 row_mask:0xf bank_mask:0xf
	v_cndmask_b32_e64 v38, 0, v38, s[8:9]
	v_add_u32_e32 v38, v4, v38
	s_and_saveexec_b64 s[46:47], s[12:13]
; %bb.13:                               ;   in Loop: Header=BB34_3 Depth=1
	ds_write_b32 v19, v38 offset:3264
; %bb.14:                               ;   in Loop: Header=BB34_3 Depth=1
	s_or_b64 exec, exec, s[46:47]
	s_waitcnt lgkmcnt(0)
	s_barrier
	s_and_saveexec_b64 s[46:47], s[4:5]
	s_cbranch_execz .LBB34_16
; %bb.15:                               ;   in Loop: Header=BB34_3 Depth=1
	ds_read_b32 v4, v21 offset:3264
	s_waitcnt lgkmcnt(0)
	s_nop 0
	v_mov_b32_dpp v39, v4 row_shr:1 row_mask:0xf bank_mask:0xf
	v_cndmask_b32_e64 v39, v39, 0, s[6:7]
	v_add_u32_e32 v4, v39, v4
	ds_write_b32 v21, v4 offset:3264
.LBB34_16:                              ;   in Loop: Header=BB34_3 Depth=1
	s_or_b64 exec, exec, s[46:47]
	v_mov_b32_e32 v39, 0
	s_waitcnt lgkmcnt(0)
	s_barrier
	s_and_saveexec_b64 s[46:47], s[2:3]
; %bb.17:                               ;   in Loop: Header=BB34_3 Depth=1
	ds_read_b32 v39, v19 offset:3260
; %bb.18:                               ;   in Loop: Header=BB34_3 Depth=1
	s_or_b64 exec, exec, s[46:47]
	s_waitcnt lgkmcnt(0)
	v_add_u32_e32 v38, v39, v38
	ds_bpermute_b32 v38, v20, v38
	ds_read_b32 v40, v14 offset:3268
	v_and_b32_e32 v41, 0xffff, v35
	v_and_b32_e32 v42, 0xffff, v36
	;; [unrolled: 1-line block ×3, first 2 shown]
	s_waitcnt lgkmcnt(1)
	v_cndmask_b32_e64 v35, v38, v39, s[0:1]
	s_waitcnt lgkmcnt(0)
	v_lshl_add_u32 v35, v40, 16, v35
	v_add_u32_e32 v36, v35, v5
	v_add_u32_e32 v5, v36, v6
	;; [unrolled: 1-line block ×7, first 2 shown]
	ds_write2_b64 v17, v[35:36], v[5:6] offset1:1
	ds_write2_b64 v17, v[7:8], v[1:2] offset0:2 offset1:3
	s_waitcnt lgkmcnt(0)
	s_barrier
	ds_read_u16 v1, v32
	ds_read_u16 v2, v33
	;; [unrolled: 1-line block ×3, first 2 shown]
	s_add_i32 s44, s44, 4
	v_mov_b32_e32 v4, v30
	s_cmp_ge_u32 s44, s45
	s_waitcnt lgkmcnt(2)
	v_add_lshl_u32 v6, v1, v41, 1
	s_waitcnt lgkmcnt(1)
	v_add_lshl_u32 v5, v2, v42, 1
	;; [unrolled: 2-line block ×3, first 2 shown]
	s_mov_b64 s[46:47], -1
	v_readfirstlane_b32 s43, v0
                                        ; implicit-def: $vgpr7
                                        ; implicit-def: $vgpr8
                                        ; implicit-def: $vgpr2
	s_cbranch_scc1 .LBB34_2
; %bb.19:                               ;   in Loop: Header=BB34_3 Depth=1
	v_add_u32_e32 v1, v6, v6
	s_barrier
	ds_write_b16 v6, v30
	ds_write_b16 v5, v31
	;; [unrolled: 1-line block ×3, first 2 shown]
	s_waitcnt lgkmcnt(0)
	s_barrier
	ds_read_b32 v30, v18
	ds_read_u16 v7, v18 offset:4
	s_waitcnt lgkmcnt(0)
	s_barrier
	ds_write_b32 v1, v28
	v_add_u32_e32 v1, v5, v5
	ds_write_b32 v1, v27
	v_add_u32_e32 v1, v3, v3
	ds_write_b32 v1, v26
	s_waitcnt lgkmcnt(0)
	s_barrier
	ds_read2_b32 v[1:2], v16 offset1:1
	ds_read_b32 v8, v16 offset:8
	s_add_i32 s43, s41, -4
	s_mov_b64 s[46:47], 0
	s_waitcnt lgkmcnt(0)
	s_barrier
	s_branch .LBB34_2
.LBB34_20:
	s_mov_b64 s[24:25], -1
                                        ; implicit-def: $vgpr2
                                        ; implicit-def: $vgpr1
	s_branch .LBB34_22
.LBB34_21:
	s_barrier
	ds_write_b16 v6, v4
	ds_write_b16 v5, v31
	;; [unrolled: 1-line block ×3, first 2 shown]
	s_waitcnt lgkmcnt(0)
	s_barrier
	ds_read_b32 v1, v18
	ds_read_u16 v2, v18 offset:4
	v_add_u32_e32 v4, v6, v6
	s_waitcnt lgkmcnt(0)
	s_barrier
	ds_write_b32 v4, v28
	v_add_u32_e32 v4, v5, v5
	v_add_u32_e32 v3, v3, v3
	s_mov_b64 s[24:25], 0
	ds_write_b32 v4, v27
	ds_write_b32 v3, v26
	s_waitcnt lgkmcnt(0)
	s_barrier
.LBB34_22:
	v_add_co_u32_e32 v14, vcc, s40, v12
	v_addc_co_u32_e32 v15, vcc, 0, v15, vcc
	v_add_co_u32_e32 v12, vcc, s42, v13
	v_addc_co_u32_e32 v13, vcc, 0, v25, vcc
	s_and_b64 vcc, exec, s[24:25]
	s_cbranch_vccz .LBB34_84
; %bb.23:
	s_and_saveexec_b64 s[24:25], s[22:23]
	s_cbranch_execz .LBB34_32
; %bb.24:
	v_lshlrev_b32_e32 v1, 3, v0
	s_movk_i32 s26, 0x2ca
	v_mov_b32_e32 v2, 0
	v_sub_u32_e32 v3, v16, v1
	v_cmp_gt_u32_e32 vcc, s26, v0
	ds_write_b32 v3, v2
	s_and_b64 exec, exec, vcc
	s_cbranch_execz .LBB34_32
; %bb.25:
	v_sub_u32_e32 v1, 0, v1
	s_movk_i32 s26, 0x264
	v_add_u32_e32 v1, v16, v1
	v_cmp_gt_u32_e32 vcc, s26, v0
	ds_write_b32 v1, v2 offset:408
	s_and_b64 exec, exec, vcc
	s_cbranch_execz .LBB34_32
; %bb.26:
	s_movk_i32 s26, 0x1fe
	v_mov_b32_e32 v2, 0
	v_cmp_gt_u32_e32 vcc, s26, v0
	ds_write_b32 v1, v2 offset:816
	s_and_b64 exec, exec, vcc
	s_cbranch_execz .LBB34_32
; %bb.27:
	s_movk_i32 s26, 0x198
	v_cmp_gt_u32_e32 vcc, s26, v0
	ds_write_b32 v1, v2 offset:1224
	s_and_b64 exec, exec, vcc
	s_cbranch_execz .LBB34_32
; %bb.28:
	s_movk_i32 s26, 0x132
	v_mov_b32_e32 v2, 0
	v_cmp_gt_u32_e32 vcc, s26, v0
	ds_write_b32 v1, v2 offset:1632
	s_and_b64 exec, exec, vcc
	s_cbranch_execz .LBB34_32
; %bb.29:
	s_movk_i32 s26, 0xcc
	v_cmp_gt_u32_e32 vcc, s26, v0
	ds_write_b32 v1, v2 offset:2040
	s_and_b64 exec, exec, vcc
	s_cbranch_execz .LBB34_32
; %bb.30:
	s_movk_i32 s26, 0x66
	v_mov_b32_e32 v2, 0
	v_cmp_gt_u32_e32 vcc, s26, v0
	ds_write_b32 v1, v2 offset:2448
	s_and_b64 exec, exec, vcc
; %bb.31:
	ds_write_b32 v1, v2 offset:2856
.LBB34_32:
	s_or_b64 exec, exec, s[24:25]
	v_and_b32_e32 v1, 7, v24
	s_movk_i32 s24, 0x66
	v_lshrrev_b32_e32 v2, 2, v24
	v_mad_u32_u24 v1, v1, s24, v0
	v_and_b32_e32 v2, 2, v2
	v_lshl_or_b32 v25, v1, 2, v2
	ds_read_u16 v28, v25
	v_bfe_u32 v1, v24, 16, 3
	v_mad_u32_u24 v1, v1, s24, v0
	s_waitcnt lgkmcnt(0)
	v_add_u16_e32 v2, 1, v28
	ds_write_b16 v25, v2
	v_lshrrev_b32_e32 v2, 18, v24
	v_and_b32_e32 v2, 2, v2
	v_lshl_or_b32 v26, v1, 2, v2
	ds_read_u16 v29, v26
	v_mov_b32_e32 v2, 2
	v_lshrrev_b32_sdwa v2, v2, v23 dst_sel:DWORD dst_unused:UNUSED_PAD src0_sel:DWORD src1_sel:WORD_0
	v_and_b32_e32 v2, 2, v2
	s_waitcnt lgkmcnt(0)
	v_add_u16_e32 v1, 1, v29
	ds_write_b16 v26, v1
	v_mov_b32_e32 v1, 7
	v_and_b32_sdwa v1, v23, v1 dst_sel:DWORD dst_unused:UNUSED_PAD src0_sel:WORD_0 src1_sel:DWORD
	v_mad_u32_u24 v1, v1, s24, v0
	v_lshl_or_b32 v27, v1, 2, v2
	ds_read_u16 v30, v27
	s_waitcnt lgkmcnt(0)
	v_add_u16_e32 v1, 1, v30
	ds_write_b16 v27, v1
	s_waitcnt vmcnt(0) lgkmcnt(0)
	s_barrier
	ds_read2_b64 v[5:8], v17 offset1:1
	ds_read2_b64 v[1:4], v17 offset0:2 offset1:3
	s_waitcnt lgkmcnt(1)
	v_add_u32_e32 v31, v6, v5
	v_add3_u32 v31, v31, v7, v8
	s_waitcnt lgkmcnt(0)
	v_add3_u32 v31, v31, v1, v2
	v_add3_u32 v4, v31, v3, v4
	s_nop 1
	v_mov_b32_dpp v31, v4 row_shr:1 row_mask:0xf bank_mask:0xf
	v_cndmask_b32_e64 v31, v31, 0, s[20:21]
	v_add_u32_e32 v4, v31, v4
	s_nop 1
	v_mov_b32_dpp v31, v4 row_shr:2 row_mask:0xf bank_mask:0xf
	v_cndmask_b32_e64 v31, 0, v31, s[18:19]
	v_add_u32_e32 v4, v4, v31
	s_nop 1
	v_mov_b32_dpp v31, v4 row_shr:4 row_mask:0xf bank_mask:0xf
	v_cndmask_b32_e64 v31, 0, v31, s[16:17]
	v_add_u32_e32 v4, v4, v31
	s_nop 1
	v_mov_b32_dpp v31, v4 row_shr:8 row_mask:0xf bank_mask:0xf
	v_cndmask_b32_e64 v31, 0, v31, s[14:15]
	v_add_u32_e32 v4, v4, v31
	s_nop 1
	v_mov_b32_dpp v31, v4 row_bcast:15 row_mask:0xf bank_mask:0xf
	v_cndmask_b32_e64 v31, v31, 0, s[10:11]
	v_add_u32_e32 v4, v4, v31
	s_nop 1
	v_mov_b32_dpp v31, v4 row_bcast:31 row_mask:0xf bank_mask:0xf
	v_cndmask_b32_e64 v31, 0, v31, s[8:9]
	v_add_u32_e32 v31, v4, v31
	s_and_saveexec_b64 s[24:25], s[12:13]
; %bb.33:
	ds_write_b32 v19, v31 offset:3264
; %bb.34:
	s_or_b64 exec, exec, s[24:25]
	s_waitcnt lgkmcnt(0)
	s_barrier
	s_and_saveexec_b64 s[24:25], s[4:5]
	s_cbranch_execz .LBB34_36
; %bb.35:
	ds_read_b32 v4, v21 offset:3264
	s_waitcnt lgkmcnt(0)
	s_nop 0
	v_mov_b32_dpp v32, v4 row_shr:1 row_mask:0xf bank_mask:0xf
	v_cndmask_b32_e64 v32, v32, 0, s[6:7]
	v_add_u32_e32 v4, v32, v4
	ds_write_b32 v21, v4 offset:3264
.LBB34_36:
	s_or_b64 exec, exec, s[24:25]
	v_lshrrev_b32_e32 v4, 16, v24
	v_mov_b32_e32 v33, 0
	v_mov_b32_e32 v32, 0
	s_waitcnt lgkmcnt(0)
	s_barrier
	s_and_saveexec_b64 s[24:25], s[2:3]
; %bb.37:
	ds_read_b32 v32, v19 offset:3260
; %bb.38:
	s_or_b64 exec, exec, s[24:25]
	s_waitcnt lgkmcnt(0)
	v_add_u32_e32 v31, v32, v31
	ds_bpermute_b32 v31, v20, v31
	ds_read_b32 v33, v33 offset:3268
	v_and_b32_e32 v34, 0xffff, v28
	v_and_b32_e32 v35, 0xffff, v29
	;; [unrolled: 1-line block ×3, first 2 shown]
	s_waitcnt lgkmcnt(1)
	v_cndmask_b32_e64 v28, v31, v32, s[0:1]
	s_waitcnt lgkmcnt(0)
	v_lshl_add_u32 v28, v33, 16, v28
	v_add_u32_e32 v29, v28, v5
	v_add_u32_e32 v5, v29, v6
	;; [unrolled: 1-line block ×7, first 2 shown]
	ds_write2_b64 v17, v[28:29], v[5:6] offset1:1
	ds_write2_b64 v17, v[7:8], v[1:2] offset0:2 offset1:3
	s_waitcnt lgkmcnt(0)
	s_barrier
	ds_read_u16 v1, v25
	ds_read_u16 v2, v26
	;; [unrolled: 1-line block ×3, first 2 shown]
	s_waitcnt lgkmcnt(0)
	s_barrier
	v_add_lshl_u32 v1, v1, v34, 1
	ds_write_b16 v1, v24
	v_add_lshl_u32 v2, v2, v35, 1
	v_add_lshl_u32 v3, v3, v30, 1
	v_add_u32_e32 v1, v1, v1
	ds_write_b16 v2, v4
	ds_write_b16 v3, v23
	s_waitcnt lgkmcnt(0)
	s_barrier
	ds_read_u16 v25, v18
	ds_read_u16 v24, v18 offset:2
	ds_read_u16 v23, v18 offset:4
	s_waitcnt lgkmcnt(0)
	s_barrier
	ds_write_b32 v1, v9
	v_add_u32_e32 v1, v2, v2
	ds_write_b32 v1, v10
	v_add_u32_e32 v1, v3, v3
	ds_write_b32 v1, v11
	s_waitcnt lgkmcnt(0)
	s_barrier
	ds_read2_b32 v[9:10], v16 offset1:1
	ds_read_b32 v11, v16 offset:8
	s_waitcnt lgkmcnt(0)
	s_barrier
	s_and_saveexec_b64 s[24:25], s[22:23]
	s_cbranch_execz .LBB34_47
; %bb.39:
	s_movk_i32 s26, 0x2ca
	v_mov_b32_e32 v1, 0
	v_cmp_gt_u32_e32 vcc, s26, v0
	ds_write_b32 v22, v1
	s_and_b64 exec, exec, vcc
	s_cbranch_execz .LBB34_47
; %bb.40:
	s_movk_i32 s26, 0x264
	v_cmp_gt_u32_e32 vcc, s26, v0
	ds_write_b32 v22, v1 offset:408
	s_and_b64 exec, exec, vcc
	s_cbranch_execz .LBB34_47
; %bb.41:
	s_movk_i32 s26, 0x1fe
	v_mov_b32_e32 v1, 0
	v_cmp_gt_u32_e32 vcc, s26, v0
	ds_write_b32 v22, v1 offset:816
	s_and_b64 exec, exec, vcc
	s_cbranch_execz .LBB34_47
; %bb.42:
	s_movk_i32 s26, 0x198
	v_cmp_gt_u32_e32 vcc, s26, v0
	ds_write_b32 v22, v1 offset:1224
	s_and_b64 exec, exec, vcc
	s_cbranch_execz .LBB34_47
; %bb.43:
	s_movk_i32 s26, 0x132
	v_mov_b32_e32 v1, 0
	v_cmp_gt_u32_e32 vcc, s26, v0
	ds_write_b32 v22, v1 offset:1632
	;; [unrolled: 13-line block ×3, first 2 shown]
	s_and_b64 exec, exec, vcc
; %bb.46:
	ds_write_b32 v22, v1 offset:2856
.LBB34_47:
	s_or_b64 exec, exec, s[24:25]
	v_lshrrev_b16_e32 v1, 4, v25
	v_and_b32_e32 v2, 7, v1
	s_movk_i32 s24, 0x66
	v_lshrrev_b32_e32 v1, 2, v1
	v_mad_u32_u24 v2, v2, s24, v0
	v_and_b32_e32 v1, 2, v1
	v_lshl_or_b32 v26, v2, 2, v1
	ds_read_u16 v29, v26
	v_lshrrev_b16_e32 v1, 4, v24
	s_waitcnt lgkmcnt(0)
	v_add_u16_e32 v2, 1, v29
	ds_write_b16 v26, v2
	v_and_b32_e32 v2, 7, v1
	v_lshrrev_b32_e32 v1, 2, v1
	v_mad_u32_u24 v2, v2, s24, v0
	v_and_b32_e32 v1, 2, v1
	v_lshl_or_b32 v27, v2, 2, v1
	ds_read_u16 v30, v27
	s_waitcnt lgkmcnt(0)
	v_add_u16_e32 v1, 1, v30
	ds_write_b16 v27, v1
	v_lshrrev_b16_e32 v1, 4, v23
	v_and_b32_e32 v2, 7, v1
	v_lshrrev_b32_e32 v1, 2, v1
	v_mad_u32_u24 v2, v2, s24, v0
	v_and_b32_e32 v1, 2, v1
	v_lshl_or_b32 v28, v2, 2, v1
	ds_read_u16 v31, v28
	s_waitcnt lgkmcnt(0)
	v_add_u16_e32 v1, 1, v31
	ds_write_b16 v28, v1
	s_waitcnt lgkmcnt(0)
	s_barrier
	ds_read2_b64 v[5:8], v17 offset1:1
	ds_read2_b64 v[1:4], v17 offset0:2 offset1:3
	s_waitcnt lgkmcnt(1)
	v_add_u32_e32 v32, v6, v5
	v_add3_u32 v32, v32, v7, v8
	s_waitcnt lgkmcnt(0)
	v_add3_u32 v32, v32, v1, v2
	v_add3_u32 v4, v32, v3, v4
	s_nop 1
	v_mov_b32_dpp v32, v4 row_shr:1 row_mask:0xf bank_mask:0xf
	v_cndmask_b32_e64 v32, v32, 0, s[20:21]
	v_add_u32_e32 v4, v32, v4
	s_nop 1
	v_mov_b32_dpp v32, v4 row_shr:2 row_mask:0xf bank_mask:0xf
	v_cndmask_b32_e64 v32, 0, v32, s[18:19]
	v_add_u32_e32 v4, v4, v32
	;; [unrolled: 4-line block ×4, first 2 shown]
	s_nop 1
	v_mov_b32_dpp v32, v4 row_bcast:15 row_mask:0xf bank_mask:0xf
	v_cndmask_b32_e64 v32, v32, 0, s[10:11]
	v_add_u32_e32 v4, v4, v32
	s_nop 1
	v_mov_b32_dpp v32, v4 row_bcast:31 row_mask:0xf bank_mask:0xf
	v_cndmask_b32_e64 v32, 0, v32, s[8:9]
	v_add_u32_e32 v4, v4, v32
	s_and_saveexec_b64 s[24:25], s[12:13]
; %bb.48:
	ds_write_b32 v19, v4 offset:3264
; %bb.49:
	s_or_b64 exec, exec, s[24:25]
	s_waitcnt lgkmcnt(0)
	s_barrier
	s_and_saveexec_b64 s[24:25], s[4:5]
	s_cbranch_execz .LBB34_51
; %bb.50:
	ds_read_b32 v32, v21 offset:3264
	s_waitcnt lgkmcnt(0)
	s_nop 0
	v_mov_b32_dpp v33, v32 row_shr:1 row_mask:0xf bank_mask:0xf
	v_cndmask_b32_e64 v33, v33, 0, s[6:7]
	v_add_u32_e32 v32, v33, v32
	ds_write_b32 v21, v32 offset:3264
.LBB34_51:
	s_or_b64 exec, exec, s[24:25]
	v_mov_b32_e32 v33, 0
	v_mov_b32_e32 v32, 0
	s_waitcnt lgkmcnt(0)
	s_barrier
	s_and_saveexec_b64 s[24:25], s[2:3]
; %bb.52:
	ds_read_b32 v32, v19 offset:3260
; %bb.53:
	s_or_b64 exec, exec, s[24:25]
	s_waitcnt lgkmcnt(0)
	v_add_u32_e32 v4, v32, v4
	ds_bpermute_b32 v4, v20, v4
	ds_read_b32 v33, v33 offset:3268
	v_and_b32_e32 v34, 0xffff, v29
	v_and_b32_e32 v35, 0xffff, v30
	v_and_b32_e32 v31, 0xffff, v31
	s_waitcnt lgkmcnt(1)
	v_cndmask_b32_e64 v4, v4, v32, s[0:1]
	s_waitcnt lgkmcnt(0)
	v_lshl_add_u32 v4, v33, 16, v4
	v_add_u32_e32 v5, v4, v5
	v_add_u32_e32 v6, v5, v6
	;; [unrolled: 1-line block ×7, first 2 shown]
	ds_write2_b64 v17, v[4:5], v[6:7] offset1:1
	ds_write2_b64 v17, v[29:30], v[1:2] offset0:2 offset1:3
	s_waitcnt lgkmcnt(0)
	s_barrier
	ds_read_u16 v1, v26
	ds_read_u16 v2, v27
	;; [unrolled: 1-line block ×3, first 2 shown]
	s_waitcnt lgkmcnt(0)
	s_barrier
	v_add_lshl_u32 v1, v1, v34, 1
	ds_write_b16 v1, v25
	v_add_lshl_u32 v2, v2, v35, 1
	v_add_lshl_u32 v3, v3, v31, 1
	v_add_u32_e32 v1, v1, v1
	ds_write_b16 v2, v24
	ds_write_b16 v3, v23
	s_waitcnt lgkmcnt(0)
	s_barrier
	ds_read_u16 v26, v18
	ds_read_u16 v24, v18 offset:2
	ds_read_u16 v23, v18 offset:4
	s_waitcnt lgkmcnt(0)
	s_barrier
	ds_write_b32 v1, v9
	v_add_u32_e32 v1, v2, v2
	ds_write_b32 v1, v10
	v_add_u32_e32 v1, v3, v3
	ds_write_b32 v1, v11
	s_waitcnt lgkmcnt(0)
	s_barrier
	ds_read2_b32 v[9:10], v16 offset1:1
	ds_read_b32 v25, v16 offset:8
	s_waitcnt lgkmcnt(0)
	s_barrier
	s_and_saveexec_b64 s[24:25], s[22:23]
	s_cbranch_execz .LBB34_62
; %bb.54:
	s_movk_i32 s26, 0x2ca
	v_mov_b32_e32 v1, 0
	v_cmp_gt_u32_e32 vcc, s26, v0
	ds_write_b32 v22, v1
	s_and_b64 exec, exec, vcc
	s_cbranch_execz .LBB34_62
; %bb.55:
	s_movk_i32 s26, 0x264
	v_cmp_gt_u32_e32 vcc, s26, v0
	ds_write_b32 v22, v1 offset:408
	s_and_b64 exec, exec, vcc
	s_cbranch_execz .LBB34_62
; %bb.56:
	s_movk_i32 s26, 0x1fe
	v_mov_b32_e32 v1, 0
	v_cmp_gt_u32_e32 vcc, s26, v0
	ds_write_b32 v22, v1 offset:816
	s_and_b64 exec, exec, vcc
	s_cbranch_execz .LBB34_62
; %bb.57:
	s_movk_i32 s26, 0x198
	v_cmp_gt_u32_e32 vcc, s26, v0
	ds_write_b32 v22, v1 offset:1224
	s_and_b64 exec, exec, vcc
	s_cbranch_execz .LBB34_62
; %bb.58:
	s_movk_i32 s26, 0x132
	v_mov_b32_e32 v1, 0
	v_cmp_gt_u32_e32 vcc, s26, v0
	ds_write_b32 v22, v1 offset:1632
	;; [unrolled: 13-line block ×3, first 2 shown]
	s_and_b64 exec, exec, vcc
; %bb.61:
	ds_write_b32 v22, v1 offset:2856
.LBB34_62:
	s_or_b64 exec, exec, s[24:25]
	v_mov_b32_e32 v1, 7
	v_mov_b32_e32 v3, 2
	v_and_b32_sdwa v2, v26, v1 dst_sel:DWORD dst_unused:UNUSED_PAD src0_sel:BYTE_1 src1_sel:DWORD
	s_movk_i32 s24, 0x66
	v_lshrrev_b32_sdwa v4, v3, v26 dst_sel:DWORD dst_unused:UNUSED_PAD src0_sel:DWORD src1_sel:BYTE_1
	v_mad_u32_u24 v2, v2, s24, v0
	v_and_b32_e32 v4, 2, v4
	v_lshl_or_b32 v11, v2, 2, v4
	ds_read_u16 v29, v11
	v_lshrrev_b32_sdwa v4, v3, v24 dst_sel:DWORD dst_unused:UNUSED_PAD src0_sel:DWORD src1_sel:BYTE_1
	v_and_b32_e32 v4, 2, v4
	s_waitcnt lgkmcnt(0)
	v_add_u16_e32 v2, 1, v29
	ds_write_b16 v11, v2
	v_and_b32_sdwa v2, v24, v1 dst_sel:DWORD dst_unused:UNUSED_PAD src0_sel:BYTE_1 src1_sel:DWORD
	v_mad_u32_u24 v2, v2, s24, v0
	v_lshl_or_b32 v27, v2, 2, v4
	ds_read_u16 v30, v27
	v_and_b32_sdwa v1, v23, v1 dst_sel:DWORD dst_unused:UNUSED_PAD src0_sel:BYTE_1 src1_sel:DWORD
	v_mad_u32_u24 v1, v1, s24, v0
	s_waitcnt lgkmcnt(0)
	v_add_u16_e32 v2, 1, v30
	ds_write_b16 v27, v2
	v_lshrrev_b32_sdwa v2, v3, v23 dst_sel:DWORD dst_unused:UNUSED_PAD src0_sel:DWORD src1_sel:BYTE_1
	v_and_b32_e32 v2, 2, v2
	v_lshl_or_b32 v28, v1, 2, v2
	ds_read_u16 v31, v28
	s_waitcnt lgkmcnt(0)
	v_add_u16_e32 v1, 1, v31
	ds_write_b16 v28, v1
	s_waitcnt lgkmcnt(0)
	s_barrier
	ds_read2_b64 v[5:8], v17 offset1:1
	ds_read2_b64 v[1:4], v17 offset0:2 offset1:3
	s_waitcnt lgkmcnt(1)
	v_add_u32_e32 v32, v6, v5
	v_add3_u32 v32, v32, v7, v8
	s_waitcnt lgkmcnt(0)
	v_add3_u32 v32, v32, v1, v2
	v_add3_u32 v4, v32, v3, v4
	s_nop 1
	v_mov_b32_dpp v32, v4 row_shr:1 row_mask:0xf bank_mask:0xf
	v_cndmask_b32_e64 v32, v32, 0, s[20:21]
	v_add_u32_e32 v4, v32, v4
	s_nop 1
	v_mov_b32_dpp v32, v4 row_shr:2 row_mask:0xf bank_mask:0xf
	v_cndmask_b32_e64 v32, 0, v32, s[18:19]
	v_add_u32_e32 v4, v4, v32
	;; [unrolled: 4-line block ×4, first 2 shown]
	s_nop 1
	v_mov_b32_dpp v32, v4 row_bcast:15 row_mask:0xf bank_mask:0xf
	v_cndmask_b32_e64 v32, v32, 0, s[10:11]
	v_add_u32_e32 v4, v4, v32
	s_nop 1
	v_mov_b32_dpp v32, v4 row_bcast:31 row_mask:0xf bank_mask:0xf
	v_cndmask_b32_e64 v32, 0, v32, s[8:9]
	v_add_u32_e32 v4, v4, v32
	s_and_saveexec_b64 s[24:25], s[12:13]
; %bb.63:
	ds_write_b32 v19, v4 offset:3264
; %bb.64:
	s_or_b64 exec, exec, s[24:25]
	s_waitcnt lgkmcnt(0)
	s_barrier
	s_and_saveexec_b64 s[24:25], s[4:5]
	s_cbranch_execz .LBB34_66
; %bb.65:
	ds_read_b32 v32, v21 offset:3264
	s_waitcnt lgkmcnt(0)
	s_nop 0
	v_mov_b32_dpp v33, v32 row_shr:1 row_mask:0xf bank_mask:0xf
	v_cndmask_b32_e64 v33, v33, 0, s[6:7]
	v_add_u32_e32 v32, v33, v32
	ds_write_b32 v21, v32 offset:3264
.LBB34_66:
	s_or_b64 exec, exec, s[24:25]
	v_mov_b32_e32 v33, 0
	v_mov_b32_e32 v32, 0
	s_waitcnt lgkmcnt(0)
	s_barrier
	s_and_saveexec_b64 s[24:25], s[2:3]
; %bb.67:
	ds_read_b32 v32, v19 offset:3260
; %bb.68:
	s_or_b64 exec, exec, s[24:25]
	s_waitcnt lgkmcnt(0)
	v_add_u32_e32 v4, v32, v4
	ds_bpermute_b32 v4, v20, v4
	ds_read_b32 v33, v33 offset:3268
	v_and_b32_e32 v34, 0xffff, v29
	v_and_b32_e32 v35, 0xffff, v30
	;; [unrolled: 1-line block ×3, first 2 shown]
	s_waitcnt lgkmcnt(1)
	v_cndmask_b32_e64 v4, v4, v32, s[0:1]
	s_waitcnt lgkmcnt(0)
	v_lshl_add_u32 v4, v33, 16, v4
	v_add_u32_e32 v5, v4, v5
	v_add_u32_e32 v6, v5, v6
	;; [unrolled: 1-line block ×7, first 2 shown]
	ds_write2_b64 v17, v[4:5], v[6:7] offset1:1
	ds_write2_b64 v17, v[29:30], v[1:2] offset0:2 offset1:3
	s_waitcnt lgkmcnt(0)
	s_barrier
	ds_read_u16 v1, v11
	ds_read_u16 v2, v27
	;; [unrolled: 1-line block ×3, first 2 shown]
	s_waitcnt lgkmcnt(0)
	s_barrier
	v_add_lshl_u32 v1, v1, v34, 1
	ds_write_b16 v1, v26
	v_add_lshl_u32 v2, v2, v35, 1
	v_add_lshl_u32 v3, v3, v31, 1
	v_add_u32_e32 v1, v1, v1
	ds_write_b16 v2, v24
	ds_write_b16 v3, v23
	s_waitcnt lgkmcnt(0)
	s_barrier
	ds_read_u16 v24, v18
	ds_read_u16 v23, v18 offset:2
	ds_read_u16 v11, v18 offset:4
	s_waitcnt lgkmcnt(0)
	s_barrier
	ds_write_b32 v1, v9
	v_add_u32_e32 v1, v2, v2
	ds_write_b32 v1, v10
	v_add_u32_e32 v1, v3, v3
	ds_write_b32 v1, v25
	s_waitcnt lgkmcnt(0)
	s_barrier
	ds_read2_b32 v[8:9], v16 offset1:1
	ds_read_b32 v10, v16 offset:8
	s_waitcnt lgkmcnt(0)
	s_barrier
	s_and_saveexec_b64 s[24:25], s[22:23]
	s_cbranch_execz .LBB34_77
; %bb.69:
	s_movk_i32 s22, 0x2ca
	v_mov_b32_e32 v1, 0
	v_cmp_gt_u32_e32 vcc, s22, v0
	ds_write_b32 v22, v1
	s_and_b64 exec, exec, vcc
	s_cbranch_execz .LBB34_77
; %bb.70:
	s_movk_i32 s22, 0x264
	v_cmp_gt_u32_e32 vcc, s22, v0
	ds_write_b32 v22, v1 offset:408
	s_and_b64 exec, exec, vcc
	s_cbranch_execz .LBB34_77
; %bb.71:
	s_movk_i32 s22, 0x1fe
	v_mov_b32_e32 v1, 0
	v_cmp_gt_u32_e32 vcc, s22, v0
	ds_write_b32 v22, v1 offset:816
	s_and_b64 exec, exec, vcc
	s_cbranch_execz .LBB34_77
; %bb.72:
	s_movk_i32 s22, 0x198
	v_cmp_gt_u32_e32 vcc, s22, v0
	ds_write_b32 v22, v1 offset:1224
	s_and_b64 exec, exec, vcc
	s_cbranch_execz .LBB34_77
; %bb.73:
	s_movk_i32 s22, 0x132
	v_mov_b32_e32 v1, 0
	v_cmp_gt_u32_e32 vcc, s22, v0
	ds_write_b32 v22, v1 offset:1632
	;; [unrolled: 13-line block ×3, first 2 shown]
	s_and_b64 exec, exec, vcc
; %bb.76:
	ds_write_b32 v22, v1 offset:2856
.LBB34_77:
	s_or_b64 exec, exec, s[24:25]
	v_lshrrev_b16_e32 v1, 12, v24
	v_and_b32_e32 v2, 7, v1
	s_movk_i32 s22, 0x66
	v_lshrrev_b32_e32 v1, 2, v1
	v_mad_u32_u24 v2, v2, s22, v0
	v_and_b32_e32 v1, 2, v1
	v_lshl_or_b32 v22, v2, 2, v1
	ds_read_u16 v28, v22
	v_lshrrev_b16_e32 v1, 12, v23
	s_waitcnt lgkmcnt(0)
	v_add_u16_e32 v2, 1, v28
	ds_write_b16 v22, v2
	v_and_b32_e32 v2, 7, v1
	v_lshrrev_b32_e32 v1, 2, v1
	v_mad_u32_u24 v2, v2, s22, v0
	v_and_b32_e32 v1, 2, v1
	v_lshl_or_b32 v25, v2, 2, v1
	ds_read_u16 v29, v25
	s_waitcnt lgkmcnt(0)
	v_add_u16_e32 v1, 1, v29
	ds_write_b16 v25, v1
	v_lshrrev_b16_e32 v1, 12, v11
	v_and_b32_e32 v2, 7, v1
	v_lshrrev_b32_e32 v1, 2, v1
	v_mad_u32_u24 v0, v2, s22, v0
	v_and_b32_e32 v1, 2, v1
	v_lshl_or_b32 v27, v0, 2, v1
	ds_read_u16 v26, v27
	s_waitcnt lgkmcnt(0)
	v_add_u16_e32 v0, 1, v26
	ds_write_b16 v27, v0
	s_waitcnt lgkmcnt(0)
	s_barrier
	ds_read2_b64 v[4:7], v17 offset1:1
	ds_read2_b64 v[0:3], v17 offset0:2 offset1:3
	s_waitcnt lgkmcnt(1)
	v_add_u32_e32 v30, v5, v4
	v_add3_u32 v30, v30, v6, v7
	s_waitcnt lgkmcnt(0)
	v_add3_u32 v30, v30, v0, v1
	v_add3_u32 v3, v30, v2, v3
	s_nop 1
	v_mov_b32_dpp v30, v3 row_shr:1 row_mask:0xf bank_mask:0xf
	v_cndmask_b32_e64 v30, v30, 0, s[20:21]
	v_add_u32_e32 v3, v30, v3
	s_nop 1
	v_mov_b32_dpp v30, v3 row_shr:2 row_mask:0xf bank_mask:0xf
	v_cndmask_b32_e64 v30, 0, v30, s[18:19]
	v_add_u32_e32 v3, v3, v30
	;; [unrolled: 4-line block ×4, first 2 shown]
	s_nop 1
	v_mov_b32_dpp v30, v3 row_bcast:15 row_mask:0xf bank_mask:0xf
	v_cndmask_b32_e64 v30, v30, 0, s[10:11]
	v_add_u32_e32 v3, v3, v30
	s_nop 1
	v_mov_b32_dpp v30, v3 row_bcast:31 row_mask:0xf bank_mask:0xf
	v_cndmask_b32_e64 v30, 0, v30, s[8:9]
	v_add_u32_e32 v3, v3, v30
	s_and_saveexec_b64 s[8:9], s[12:13]
; %bb.78:
	ds_write_b32 v19, v3 offset:3264
; %bb.79:
	s_or_b64 exec, exec, s[8:9]
	s_waitcnt lgkmcnt(0)
	s_barrier
	s_and_saveexec_b64 s[8:9], s[4:5]
	s_cbranch_execz .LBB34_81
; %bb.80:
	ds_read_b32 v30, v21 offset:3264
	s_waitcnt lgkmcnt(0)
	s_nop 0
	v_mov_b32_dpp v31, v30 row_shr:1 row_mask:0xf bank_mask:0xf
	v_cndmask_b32_e64 v31, v31, 0, s[6:7]
	v_add_u32_e32 v30, v31, v30
	ds_write_b32 v21, v30 offset:3264
.LBB34_81:
	s_or_b64 exec, exec, s[8:9]
	v_mov_b32_e32 v30, 0
	v_mov_b32_e32 v21, 0
	s_waitcnt lgkmcnt(0)
	s_barrier
	s_and_saveexec_b64 s[4:5], s[2:3]
; %bb.82:
	ds_read_b32 v21, v19 offset:3260
; %bb.83:
	s_or_b64 exec, exec, s[4:5]
	s_waitcnt lgkmcnt(0)
	v_add_u32_e32 v3, v21, v3
	ds_bpermute_b32 v3, v20, v3
	ds_read_b32 v19, v30 offset:3268
	v_and_b32_e32 v28, 0xffff, v28
	v_and_b32_e32 v29, 0xffff, v29
	s_waitcnt lgkmcnt(1)
	v_cndmask_b32_e64 v3, v3, v21, s[0:1]
	s_waitcnt lgkmcnt(0)
	v_lshl_add_u32 v3, v19, 16, v3
	v_add_u32_e32 v4, v3, v4
	v_add_u32_e32 v5, v4, v5
	;; [unrolled: 1-line block ×7, first 2 shown]
	ds_write2_b64 v17, v[3:4], v[5:6] offset1:1
	ds_write2_b64 v17, v[19:20], v[0:1] offset0:2 offset1:3
	s_waitcnt lgkmcnt(0)
	s_barrier
	ds_read_u16 v0, v27
	ds_read_u16 v1, v25
	;; [unrolled: 1-line block ×3, first 2 shown]
	v_and_b32_e32 v3, 0xffff, v26
	s_waitcnt lgkmcnt(0)
	v_add_lshl_u32 v0, v0, v3, 1
	v_add_lshl_u32 v5, v1, v29, 1
	;; [unrolled: 1-line block ×3, first 2 shown]
	s_barrier
	ds_write_b16 v4, v24
	ds_write_b16 v5, v23
	;; [unrolled: 1-line block ×3, first 2 shown]
	s_waitcnt lgkmcnt(0)
	s_barrier
	ds_read_b32 v1, v18
	ds_read_u16 v2, v18 offset:4
	v_add_u32_e32 v3, v4, v4
	s_waitcnt lgkmcnt(0)
	s_barrier
	ds_write_b32 v3, v8
	v_add_u32_e32 v3, v5, v5
	v_add_u32_e32 v0, v0, v0
	ds_write_b32 v3, v9
	ds_write_b32 v0, v10
	s_waitcnt lgkmcnt(0)
	s_barrier
.LBB34_84:
	ds_read2_b32 v[3:4], v16 offset1:1
	ds_read_b32 v5, v16 offset:8
	v_xor_b32_e32 v0, -1, v2
	v_xor_b32_e32 v1, -1, v1
	global_store_short v[14:15], v0, off offset:4
	global_store_dword v[14:15], v1, off
	s_waitcnt lgkmcnt(0)
	global_store_dwordx3 v[12:13], v[3:5], off
	s_endpgm
	.section	.rodata,"a",@progbits
	.p2align	6, 0x0
	.amdhsa_kernel _Z21sort_key_value_kernelILj102ELj3ELb0ELb1EtiEvPT3_PT4_jj
		.amdhsa_group_segment_fixed_size 3280
		.amdhsa_private_segment_fixed_size 0
		.amdhsa_kernarg_size 24
		.amdhsa_user_sgpr_count 6
		.amdhsa_user_sgpr_private_segment_buffer 1
		.amdhsa_user_sgpr_dispatch_ptr 0
		.amdhsa_user_sgpr_queue_ptr 0
		.amdhsa_user_sgpr_kernarg_segment_ptr 1
		.amdhsa_user_sgpr_dispatch_id 0
		.amdhsa_user_sgpr_flat_scratch_init 0
		.amdhsa_user_sgpr_private_segment_size 0
		.amdhsa_uses_dynamic_stack 0
		.amdhsa_system_sgpr_private_segment_wavefront_offset 0
		.amdhsa_system_sgpr_workgroup_id_x 1
		.amdhsa_system_sgpr_workgroup_id_y 0
		.amdhsa_system_sgpr_workgroup_id_z 0
		.amdhsa_system_sgpr_workgroup_info 0
		.amdhsa_system_vgpr_workitem_id 0
		.amdhsa_next_free_vgpr 43
		.amdhsa_next_free_sgpr 61
		.amdhsa_reserve_vcc 1
		.amdhsa_reserve_flat_scratch 0
		.amdhsa_float_round_mode_32 0
		.amdhsa_float_round_mode_16_64 0
		.amdhsa_float_denorm_mode_32 3
		.amdhsa_float_denorm_mode_16_64 3
		.amdhsa_dx10_clamp 1
		.amdhsa_ieee_mode 1
		.amdhsa_fp16_overflow 0
		.amdhsa_exception_fp_ieee_invalid_op 0
		.amdhsa_exception_fp_denorm_src 0
		.amdhsa_exception_fp_ieee_div_zero 0
		.amdhsa_exception_fp_ieee_overflow 0
		.amdhsa_exception_fp_ieee_underflow 0
		.amdhsa_exception_fp_ieee_inexact 0
		.amdhsa_exception_int_div_zero 0
	.end_amdhsa_kernel
	.section	.text._Z21sort_key_value_kernelILj102ELj3ELb0ELb1EtiEvPT3_PT4_jj,"axG",@progbits,_Z21sort_key_value_kernelILj102ELj3ELb0ELb1EtiEvPT3_PT4_jj,comdat
.Lfunc_end34:
	.size	_Z21sort_key_value_kernelILj102ELj3ELb0ELb1EtiEvPT3_PT4_jj, .Lfunc_end34-_Z21sort_key_value_kernelILj102ELj3ELb0ELb1EtiEvPT3_PT4_jj
                                        ; -- End function
	.set _Z21sort_key_value_kernelILj102ELj3ELb0ELb1EtiEvPT3_PT4_jj.num_vgpr, 43
	.set _Z21sort_key_value_kernelILj102ELj3ELb0ELb1EtiEvPT3_PT4_jj.num_agpr, 0
	.set _Z21sort_key_value_kernelILj102ELj3ELb0ELb1EtiEvPT3_PT4_jj.numbered_sgpr, 48
	.set _Z21sort_key_value_kernelILj102ELj3ELb0ELb1EtiEvPT3_PT4_jj.num_named_barrier, 0
	.set _Z21sort_key_value_kernelILj102ELj3ELb0ELb1EtiEvPT3_PT4_jj.private_seg_size, 0
	.set _Z21sort_key_value_kernelILj102ELj3ELb0ELb1EtiEvPT3_PT4_jj.uses_vcc, 1
	.set _Z21sort_key_value_kernelILj102ELj3ELb0ELb1EtiEvPT3_PT4_jj.uses_flat_scratch, 0
	.set _Z21sort_key_value_kernelILj102ELj3ELb0ELb1EtiEvPT3_PT4_jj.has_dyn_sized_stack, 0
	.set _Z21sort_key_value_kernelILj102ELj3ELb0ELb1EtiEvPT3_PT4_jj.has_recursion, 0
	.set _Z21sort_key_value_kernelILj102ELj3ELb0ELb1EtiEvPT3_PT4_jj.has_indirect_call, 0
	.section	.AMDGPU.csdata,"",@progbits
; Kernel info:
; codeLenInByte = 5696
; TotalNumSgprs: 52
; NumVgprs: 43
; ScratchSize: 0
; MemoryBound: 0
; FloatMode: 240
; IeeeMode: 1
; LDSByteSize: 3280 bytes/workgroup (compile time only)
; SGPRBlocks: 8
; VGPRBlocks: 10
; NumSGPRsForWavesPerEU: 65
; NumVGPRsForWavesPerEU: 43
; Occupancy: 5
; WaveLimiterHint : 0
; COMPUTE_PGM_RSRC2:SCRATCH_EN: 0
; COMPUTE_PGM_RSRC2:USER_SGPR: 6
; COMPUTE_PGM_RSRC2:TRAP_HANDLER: 0
; COMPUTE_PGM_RSRC2:TGID_X_EN: 1
; COMPUTE_PGM_RSRC2:TGID_Y_EN: 0
; COMPUTE_PGM_RSRC2:TGID_Z_EN: 0
; COMPUTE_PGM_RSRC2:TIDIG_COMP_CNT: 0
	.section	.text._Z21sort_key_value_kernelILj64ELj1ELb0ELb0EycEvPT3_PT4_jj,"axG",@progbits,_Z21sort_key_value_kernelILj64ELj1ELb0ELb0EycEvPT3_PT4_jj,comdat
	.protected	_Z21sort_key_value_kernelILj64ELj1ELb0ELb0EycEvPT3_PT4_jj ; -- Begin function _Z21sort_key_value_kernelILj64ELj1ELb0ELb0EycEvPT3_PT4_jj
	.globl	_Z21sort_key_value_kernelILj64ELj1ELb0ELb0EycEvPT3_PT4_jj
	.p2align	8
	.type	_Z21sort_key_value_kernelILj64ELj1ELb0ELb0EycEvPT3_PT4_jj,@function
_Z21sort_key_value_kernelILj64ELj1ELb0ELb0EycEvPT3_PT4_jj: ; @_Z21sort_key_value_kernelILj64ELj1ELb0ELb0EycEvPT3_PT4_jj
; %bb.0:
	s_load_dwordx4 s[0:3], s[4:5], 0x0
	s_load_dwordx2 s[22:23], s[4:5], 0x10
	s_lshl_b32 s6, s6, 6
	s_mov_b32 s7, 0
	s_lshl_b64 s[8:9], s[6:7], 3
	s_waitcnt lgkmcnt(0)
	s_add_u32 s18, s0, s8
	s_addc_u32 s19, s1, s9
	s_add_u32 s20, s2, s6
	v_lshlrev_b32_e32 v15, 3, v0
	s_addc_u32 s21, s3, 0
	global_load_dwordx2 v[3:4], v15, s[18:19]
	global_load_ubyte v13, v0, s[20:21]
	s_load_dword s4, s[4:5], 0x24
	s_cmp_eq_u32 s22, 0
	s_cselect_b64 s[0:1], -1, 0
	s_cmp_eq_u32 s23, 64
	s_cselect_b64 s[2:3], -1, 0
	s_and_b64 s[24:25], s[0:1], s[2:3]
	s_waitcnt lgkmcnt(0)
	s_lshr_b32 s0, s4, 16
	v_mad_u32_u24 v1, v2, s0, v1
	v_mbcnt_lo_u32_b32 v2, -1, 0
	v_mbcnt_hi_u32_b32 v17, -1, v2
	s_and_b32 s1, s4, 0xffff
	v_and_b32_e32 v2, 15, v17
	v_mad_u32_u24 v1, v1, s1, v0
	v_cmp_eq_u32_e64 s[0:1], 0, v2
	v_cmp_lt_u32_e64 s[2:3], 1, v2
	v_cmp_lt_u32_e64 s[4:5], 3, v2
	;; [unrolled: 1-line block ×3, first 2 shown]
	v_and_b32_e32 v2, 16, v17
	v_cmp_eq_u32_e64 s[8:9], 0, v2
	v_subrev_co_u32_e32 v2, vcc, 1, v17
	v_and_b32_e32 v6, 64, v17
	v_cmp_lt_i32_e64 s[14:15], v2, v6
	v_cndmask_b32_e64 v2, v2, v17, s[14:15]
	v_cmp_eq_u32_e64 s[14:15], 0, v0
	v_lshrrev_b32_e32 v1, 4, v1
	v_mov_b32_e32 v5, 0
	v_mov_b32_e32 v11, s19
	;; [unrolled: 1-line block ×3, first 2 shown]
	v_lshlrev_b32_e32 v16, 4, v0
	v_cmp_lt_u32_e64 s[10:11], 31, v17
	v_cmp_eq_u32_e64 s[12:13], 63, v0
	v_lshlrev_b32_e32 v18, 2, v2
	s_or_b64 s[16:17], s[14:15], vcc
	v_lshlrev_b32_e32 v19, 3, v17
	v_and_b32_e32 v20, 0xffffffc, v1
	s_and_b64 vcc, exec, s[24:25]
	s_cbranch_vccnz .LBB35_9
; %bb.1:
	s_waitcnt vmcnt(1)
	v_mov_b32_e32 v7, v4
	s_sub_i32 s19, s23, s22
	s_waitcnt vmcnt(0)
	v_mov_b32_e32 v14, v13
	v_mov_b32_e32 v6, v3
	s_branch .LBB35_3
.LBB35_2:                               ;   in Loop: Header=BB35_3 Depth=1
	s_andn2_b64 vcc, exec, s[14:15]
	s_cbranch_vccz .LBB35_10
.LBB35_3:                               ; =>This Inner Loop Header: Depth=1
	v_mov_b32_e32 v1, v6
	v_mov_b32_e32 v2, v7
	v_lshrrev_b64 v[6:7], s22, v[1:2]
	s_min_u32 s14, s19, 8
	v_bfe_u32 v7, v6, 0, s14
	v_and_b32_e32 v6, 1, v7
	v_add_co_u32_e32 v8, vcc, -1, v6
	v_addc_co_u32_e64 v9, s[14:15], 0, -1, vcc
	v_cmp_ne_u32_e32 vcc, 0, v6
	v_xor_b32_e32 v6, vcc_hi, v9
	v_and_b32_e32 v9, exec_hi, v6
	v_lshlrev_b32_e32 v6, 30, v7
	v_xor_b32_e32 v8, vcc_lo, v8
	v_cmp_gt_i64_e32 vcc, 0, v[5:6]
	v_not_b32_e32 v6, v6
	v_ashrrev_i32_e32 v6, 31, v6
	v_and_b32_e32 v8, exec_lo, v8
	v_xor_b32_e32 v21, vcc_hi, v6
	v_xor_b32_e32 v6, vcc_lo, v6
	v_and_b32_e32 v8, v8, v6
	v_lshlrev_b32_e32 v6, 29, v7
	v_cmp_gt_i64_e32 vcc, 0, v[5:6]
	v_not_b32_e32 v6, v6
	v_ashrrev_i32_e32 v6, 31, v6
	v_and_b32_e32 v9, v9, v21
	v_xor_b32_e32 v21, vcc_hi, v6
	v_xor_b32_e32 v6, vcc_lo, v6
	v_and_b32_e32 v8, v8, v6
	v_lshlrev_b32_e32 v6, 28, v7
	v_cmp_gt_i64_e32 vcc, 0, v[5:6]
	v_not_b32_e32 v6, v6
	v_ashrrev_i32_e32 v6, 31, v6
	v_and_b32_e32 v9, v9, v21
	;; [unrolled: 8-line block ×5, first 2 shown]
	v_xor_b32_e32 v21, vcc_hi, v6
	v_xor_b32_e32 v6, vcc_lo, v6
	v_and_b32_e32 v8, v8, v6
	v_lshlrev_b32_e32 v6, 24, v7
	v_cmp_gt_i64_e32 vcc, 0, v[5:6]
	v_not_b32_e32 v6, v6
	v_ashrrev_i32_e32 v6, 31, v6
	v_mov_b32_e32 v12, v14
	v_lshl_add_u32 v14, v7, 2, v20
	v_xor_b32_e32 v7, vcc_hi, v6
	v_xor_b32_e32 v6, vcc_lo, v6
	v_and_b32_e32 v9, v9, v21
	v_and_b32_e32 v6, v8, v6
	;; [unrolled: 1-line block ×3, first 2 shown]
	v_mbcnt_lo_u32_b32 v8, v6, 0
	v_mbcnt_hi_u32_b32 v21, v7, v8
	v_cmp_ne_u64_e32 vcc, 0, v[6:7]
	v_cmp_eq_u32_e64 s[14:15], 0, v21
	s_and_b64 s[24:25], vcc, s[14:15]
	ds_write2_b32 v16, v5, v5 offset0:1 offset1:2
	ds_write2_b32 v16, v5, v5 offset0:3 offset1:4
	s_waitcnt lgkmcnt(0)
	; wave barrier
	; wave barrier
	s_and_saveexec_b64 s[14:15], s[24:25]
; %bb.4:                                ;   in Loop: Header=BB35_3 Depth=1
	v_bcnt_u32_b32 v6, v6, 0
	v_bcnt_u32_b32 v6, v7, v6
	ds_write_b32 v14, v6 offset:4
; %bb.5:                                ;   in Loop: Header=BB35_3 Depth=1
	s_or_b64 exec, exec, s[14:15]
	; wave barrier
	s_waitcnt lgkmcnt(0)
	; wave barrier
	ds_read2_b32 v[8:9], v16 offset0:1 offset1:2
	ds_read2_b32 v[6:7], v16 offset0:3 offset1:4
	s_waitcnt lgkmcnt(1)
	v_add_u32_e32 v22, v9, v8
	s_waitcnt lgkmcnt(0)
	v_add3_u32 v7, v22, v6, v7
	s_nop 1
	v_mov_b32_dpp v22, v7 row_shr:1 row_mask:0xf bank_mask:0xf
	v_cndmask_b32_e64 v22, v22, 0, s[0:1]
	v_add_u32_e32 v7, v22, v7
	s_nop 1
	v_mov_b32_dpp v22, v7 row_shr:2 row_mask:0xf bank_mask:0xf
	v_cndmask_b32_e64 v22, 0, v22, s[2:3]
	v_add_u32_e32 v7, v7, v22
	s_nop 1
	v_mov_b32_dpp v22, v7 row_shr:4 row_mask:0xf bank_mask:0xf
	v_cndmask_b32_e64 v22, 0, v22, s[4:5]
	v_add_u32_e32 v7, v7, v22
	s_nop 1
	v_mov_b32_dpp v22, v7 row_shr:8 row_mask:0xf bank_mask:0xf
	v_cndmask_b32_e64 v22, 0, v22, s[6:7]
	v_add_u32_e32 v7, v7, v22
	s_nop 1
	v_mov_b32_dpp v22, v7 row_bcast:15 row_mask:0xf bank_mask:0xf
	v_cndmask_b32_e64 v22, v22, 0, s[8:9]
	v_add_u32_e32 v7, v7, v22
	s_nop 1
	v_mov_b32_dpp v22, v7 row_bcast:31 row_mask:0xf bank_mask:0xf
	v_cndmask_b32_e64 v22, 0, v22, s[10:11]
	v_add_u32_e32 v7, v7, v22
	s_and_saveexec_b64 s[14:15], s[12:13]
; %bb.6:                                ;   in Loop: Header=BB35_3 Depth=1
	ds_write_b32 v5, v7
; %bb.7:                                ;   in Loop: Header=BB35_3 Depth=1
	s_or_b64 exec, exec, s[14:15]
	ds_bpermute_b32 v7, v18, v7
	s_waitcnt lgkmcnt(0)
	; wave barrier
	s_add_i32 s22, s22, 8
	s_cmp_ge_u32 s22, s23
	v_cndmask_b32_e64 v7, v7, 0, s[16:17]
	v_add_u32_e32 v8, v7, v8
	v_add_u32_e32 v9, v8, v9
	;; [unrolled: 1-line block ×3, first 2 shown]
	ds_write2_b32 v16, v7, v8 offset0:1 offset1:2
	ds_write2_b32 v16, v9, v6 offset0:3 offset1:4
	s_waitcnt lgkmcnt(0)
	; wave barrier
	ds_read_b32 v6, v14 offset:4
	s_mov_b64 s[14:15], -1
	s_waitcnt lgkmcnt(0)
                                        ; implicit-def: $vgpr14
	v_add_u32_e32 v9, v6, v21
	v_lshlrev_b32_e32 v8, 3, v9
                                        ; implicit-def: $vgpr6_vgpr7
	s_cbranch_scc1 .LBB35_2
; %bb.8:                                ;   in Loop: Header=BB35_3 Depth=1
	; wave barrier
	ds_write_b64 v8, v[1:2]
	s_waitcnt lgkmcnt(0)
	; wave barrier
	ds_read_b64 v[6:7], v19
	s_waitcnt lgkmcnt(0)
	; wave barrier
	ds_write_b8 v9, v12
	s_waitcnt lgkmcnt(0)
	; wave barrier
	ds_read_u8 v14, v17
	s_add_i32 s19, s19, -8
	s_mov_b64 s[14:15], 0
	s_waitcnt lgkmcnt(0)
	; wave barrier
	s_branch .LBB35_2
.LBB35_9:
	s_mov_b64 s[14:15], -1
                                        ; implicit-def: $vgpr7_vgpr8
	s_branch .LBB35_11
.LBB35_10:
	; wave barrier
	ds_write_b64 v8, v[1:2]
	s_waitcnt lgkmcnt(0)
	; wave barrier
	ds_read_b64 v[7:8], v15
	s_waitcnt lgkmcnt(0)
	; wave barrier
	ds_write_b8 v9, v12
	s_waitcnt lgkmcnt(0)
	; wave barrier
	s_mov_b64 s[14:15], 0
.LBB35_11:
	v_add_co_u32_e32 v1, vcc, s18, v15
	v_addc_co_u32_e32 v2, vcc, 0, v11, vcc
	v_add_co_u32_e32 v5, vcc, s20, v0
	v_addc_co_u32_e32 v6, vcc, 0, v10, vcc
	s_and_b64 vcc, exec, s[14:15]
	s_cbranch_vccz .LBB35_21
; %bb.12:
	v_mov_b32_e32 v7, 0
	v_mov_b32_e32 v8, 0
	;; [unrolled: 1-line block ×3, first 2 shown]
	s_branch .LBB35_14
.LBB35_13:                              ;   in Loop: Header=BB35_14 Depth=1
	s_andn2_b64 vcc, exec, s[14:15]
	s_cbranch_vccz .LBB35_20
.LBB35_14:                              ; =>This Inner Loop Header: Depth=1
	s_waitcnt vmcnt(1)
	v_mov_b32_e32 v12, v4
	v_mov_b32_e32 v11, v3
	v_lshrrev_b64 v[3:4], v7, v[11:12]
	s_waitcnt vmcnt(0)
	v_mov_b32_e32 v21, v13
	v_and_b32_e32 v4, 0xff, v3
	v_lshl_add_u32 v22, v4, 2, v20
	v_and_b32_e32 v4, 1, v3
	v_add_co_u32_e32 v10, vcc, -1, v4
	v_addc_co_u32_e64 v13, s[14:15], 0, -1, vcc
	v_cmp_ne_u32_e32 vcc, 0, v4
	v_xor_b32_e32 v10, vcc_lo, v10
	v_xor_b32_e32 v4, vcc_hi, v13
	v_and_b32_e32 v13, exec_lo, v10
	v_lshlrev_b32_e32 v10, 30, v3
	v_cmp_gt_i64_e32 vcc, 0, v[9:10]
	v_not_b32_e32 v10, v10
	v_ashrrev_i32_e32 v10, 31, v10
	v_xor_b32_e32 v14, vcc_hi, v10
	v_xor_b32_e32 v10, vcc_lo, v10
	v_and_b32_e32 v13, v13, v10
	v_lshlrev_b32_e32 v10, 29, v3
	v_cmp_gt_i64_e32 vcc, 0, v[9:10]
	v_not_b32_e32 v10, v10
	v_and_b32_e32 v4, exec_hi, v4
	v_ashrrev_i32_e32 v10, 31, v10
	v_and_b32_e32 v4, v4, v14
	v_xor_b32_e32 v14, vcc_hi, v10
	v_xor_b32_e32 v10, vcc_lo, v10
	v_and_b32_e32 v13, v13, v10
	v_lshlrev_b32_e32 v10, 28, v3
	v_cmp_gt_i64_e32 vcc, 0, v[9:10]
	v_not_b32_e32 v10, v10
	v_ashrrev_i32_e32 v10, 31, v10
	v_and_b32_e32 v4, v4, v14
	v_xor_b32_e32 v14, vcc_hi, v10
	v_xor_b32_e32 v10, vcc_lo, v10
	v_and_b32_e32 v13, v13, v10
	v_lshlrev_b32_e32 v10, 27, v3
	v_cmp_gt_i64_e32 vcc, 0, v[9:10]
	v_not_b32_e32 v10, v10
	;; [unrolled: 8-line block ×5, first 2 shown]
	v_ashrrev_i32_e32 v3, 31, v3
	v_xor_b32_e32 v10, vcc_hi, v3
	v_xor_b32_e32 v3, vcc_lo, v3
	v_and_b32_e32 v4, v4, v14
	v_and_b32_e32 v3, v13, v3
	;; [unrolled: 1-line block ×3, first 2 shown]
	v_mbcnt_lo_u32_b32 v10, v3, 0
	v_mbcnt_hi_u32_b32 v10, v4, v10
	v_cmp_ne_u64_e32 vcc, 0, v[3:4]
	v_cmp_eq_u32_e64 s[14:15], 0, v10
	s_and_b64 s[18:19], vcc, s[14:15]
	ds_write2_b32 v16, v9, v9 offset0:1 offset1:2
	ds_write2_b32 v16, v9, v9 offset0:3 offset1:4
	s_waitcnt lgkmcnt(0)
	; wave barrier
	; wave barrier
	s_and_saveexec_b64 s[14:15], s[18:19]
; %bb.15:                               ;   in Loop: Header=BB35_14 Depth=1
	v_bcnt_u32_b32 v3, v3, 0
	v_bcnt_u32_b32 v3, v4, v3
	ds_write_b32 v22, v3 offset:4
; %bb.16:                               ;   in Loop: Header=BB35_14 Depth=1
	s_or_b64 exec, exec, s[14:15]
	; wave barrier
	s_waitcnt lgkmcnt(0)
	; wave barrier
	ds_read2_b32 v[13:14], v16 offset0:1 offset1:2
	ds_read2_b32 v[3:4], v16 offset0:3 offset1:4
	s_waitcnt lgkmcnt(1)
	v_add_u32_e32 v23, v14, v13
	s_waitcnt lgkmcnt(0)
	v_add3_u32 v4, v23, v3, v4
	s_nop 1
	v_mov_b32_dpp v23, v4 row_shr:1 row_mask:0xf bank_mask:0xf
	v_cndmask_b32_e64 v23, v23, 0, s[0:1]
	v_add_u32_e32 v4, v23, v4
	s_nop 1
	v_mov_b32_dpp v23, v4 row_shr:2 row_mask:0xf bank_mask:0xf
	v_cndmask_b32_e64 v23, 0, v23, s[2:3]
	v_add_u32_e32 v4, v4, v23
	;; [unrolled: 4-line block ×4, first 2 shown]
	s_nop 1
	v_mov_b32_dpp v23, v4 row_bcast:15 row_mask:0xf bank_mask:0xf
	v_cndmask_b32_e64 v23, v23, 0, s[8:9]
	v_add_u32_e32 v4, v4, v23
	s_nop 1
	v_mov_b32_dpp v23, v4 row_bcast:31 row_mask:0xf bank_mask:0xf
	v_cndmask_b32_e64 v23, 0, v23, s[10:11]
	v_add_u32_e32 v4, v4, v23
	s_and_saveexec_b64 s[14:15], s[12:13]
; %bb.17:                               ;   in Loop: Header=BB35_14 Depth=1
	ds_write_b32 v9, v4
; %bb.18:                               ;   in Loop: Header=BB35_14 Depth=1
	s_or_b64 exec, exec, s[14:15]
	ds_bpermute_b32 v4, v18, v4
	s_waitcnt lgkmcnt(0)
	; wave barrier
	v_cmp_lt_u32_e32 vcc, 55, v7
	s_and_b64 vcc, exec, vcc
	v_cndmask_b32_e64 v4, v4, 0, s[16:17]
	v_add_u32_e32 v13, v4, v13
	v_add_u32_e32 v14, v13, v14
	v_add_u32_e32 v3, v14, v3
	ds_write2_b32 v16, v4, v13 offset0:1 offset1:2
	ds_write2_b32 v16, v14, v3 offset0:3 offset1:4
	s_waitcnt lgkmcnt(0)
	; wave barrier
	ds_read_b32 v3, v22 offset:4
	s_mov_b64 s[14:15], -1
                                        ; implicit-def: $vgpr13
	s_waitcnt lgkmcnt(0)
	v_add_u32_e32 v10, v3, v10
                                        ; implicit-def: $vgpr3_vgpr4
	s_cbranch_vccnz .LBB35_13
; %bb.19:                               ;   in Loop: Header=BB35_14 Depth=1
	v_mad_u64_u32 v[3:4], s[14:15], v10, 7, v[10:11]
	; wave barrier
	ds_write_b64 v3, v[11:12]
	s_waitcnt lgkmcnt(0)
	; wave barrier
	ds_read_b64 v[3:4], v19
	s_waitcnt lgkmcnt(0)
	; wave barrier
	ds_write_b8 v10, v21
	s_waitcnt lgkmcnt(0)
	; wave barrier
	ds_read_u8 v13, v17
	v_add_co_u32_e32 v7, vcc, 8, v7
	v_addc_co_u32_e32 v8, vcc, 0, v8, vcc
	s_mov_b64 s[14:15], 0
	s_waitcnt lgkmcnt(0)
	; wave barrier
	s_branch .LBB35_13
.LBB35_20:
	v_mad_u64_u32 v[3:4], s[0:1], v10, 7, v[10:11]
	; wave barrier
	ds_write_b64 v3, v[11:12]
	v_sub_u32_e32 v3, v16, v15
	s_waitcnt lgkmcnt(0)
	; wave barrier
	ds_read_b64 v[7:8], v3
	s_waitcnt lgkmcnt(0)
	; wave barrier
	ds_write_b8 v10, v21
	s_waitcnt lgkmcnt(0)
	; wave barrier
.LBB35_21:
	ds_read_u8 v0, v0
	global_store_dwordx2 v[1:2], v[7:8], off
	s_waitcnt lgkmcnt(0)
	global_store_byte v[5:6], v0, off
	s_endpgm
	.section	.rodata,"a",@progbits
	.p2align	6, 0x0
	.amdhsa_kernel _Z21sort_key_value_kernelILj64ELj1ELb0ELb0EycEvPT3_PT4_jj
		.amdhsa_group_segment_fixed_size 1040
		.amdhsa_private_segment_fixed_size 0
		.amdhsa_kernarg_size 280
		.amdhsa_user_sgpr_count 6
		.amdhsa_user_sgpr_private_segment_buffer 1
		.amdhsa_user_sgpr_dispatch_ptr 0
		.amdhsa_user_sgpr_queue_ptr 0
		.amdhsa_user_sgpr_kernarg_segment_ptr 1
		.amdhsa_user_sgpr_dispatch_id 0
		.amdhsa_user_sgpr_flat_scratch_init 0
		.amdhsa_user_sgpr_private_segment_size 0
		.amdhsa_uses_dynamic_stack 0
		.amdhsa_system_sgpr_private_segment_wavefront_offset 0
		.amdhsa_system_sgpr_workgroup_id_x 1
		.amdhsa_system_sgpr_workgroup_id_y 0
		.amdhsa_system_sgpr_workgroup_id_z 0
		.amdhsa_system_sgpr_workgroup_info 0
		.amdhsa_system_vgpr_workitem_id 2
		.amdhsa_next_free_vgpr 24
		.amdhsa_next_free_sgpr 26
		.amdhsa_reserve_vcc 1
		.amdhsa_reserve_flat_scratch 0
		.amdhsa_float_round_mode_32 0
		.amdhsa_float_round_mode_16_64 0
		.amdhsa_float_denorm_mode_32 3
		.amdhsa_float_denorm_mode_16_64 3
		.amdhsa_dx10_clamp 1
		.amdhsa_ieee_mode 1
		.amdhsa_fp16_overflow 0
		.amdhsa_exception_fp_ieee_invalid_op 0
		.amdhsa_exception_fp_denorm_src 0
		.amdhsa_exception_fp_ieee_div_zero 0
		.amdhsa_exception_fp_ieee_overflow 0
		.amdhsa_exception_fp_ieee_underflow 0
		.amdhsa_exception_fp_ieee_inexact 0
		.amdhsa_exception_int_div_zero 0
	.end_amdhsa_kernel
	.section	.text._Z21sort_key_value_kernelILj64ELj1ELb0ELb0EycEvPT3_PT4_jj,"axG",@progbits,_Z21sort_key_value_kernelILj64ELj1ELb0ELb0EycEvPT3_PT4_jj,comdat
.Lfunc_end35:
	.size	_Z21sort_key_value_kernelILj64ELj1ELb0ELb0EycEvPT3_PT4_jj, .Lfunc_end35-_Z21sort_key_value_kernelILj64ELj1ELb0ELb0EycEvPT3_PT4_jj
                                        ; -- End function
	.set _Z21sort_key_value_kernelILj64ELj1ELb0ELb0EycEvPT3_PT4_jj.num_vgpr, 24
	.set _Z21sort_key_value_kernelILj64ELj1ELb0ELb0EycEvPT3_PT4_jj.num_agpr, 0
	.set _Z21sort_key_value_kernelILj64ELj1ELb0ELb0EycEvPT3_PT4_jj.numbered_sgpr, 26
	.set _Z21sort_key_value_kernelILj64ELj1ELb0ELb0EycEvPT3_PT4_jj.num_named_barrier, 0
	.set _Z21sort_key_value_kernelILj64ELj1ELb0ELb0EycEvPT3_PT4_jj.private_seg_size, 0
	.set _Z21sort_key_value_kernelILj64ELj1ELb0ELb0EycEvPT3_PT4_jj.uses_vcc, 1
	.set _Z21sort_key_value_kernelILj64ELj1ELb0ELb0EycEvPT3_PT4_jj.uses_flat_scratch, 0
	.set _Z21sort_key_value_kernelILj64ELj1ELb0ELb0EycEvPT3_PT4_jj.has_dyn_sized_stack, 0
	.set _Z21sort_key_value_kernelILj64ELj1ELb0ELb0EycEvPT3_PT4_jj.has_recursion, 0
	.set _Z21sort_key_value_kernelILj64ELj1ELb0ELb0EycEvPT3_PT4_jj.has_indirect_call, 0
	.section	.AMDGPU.csdata,"",@progbits
; Kernel info:
; codeLenInByte = 1976
; TotalNumSgprs: 30
; NumVgprs: 24
; ScratchSize: 0
; MemoryBound: 0
; FloatMode: 240
; IeeeMode: 1
; LDSByteSize: 1040 bytes/workgroup (compile time only)
; SGPRBlocks: 3
; VGPRBlocks: 5
; NumSGPRsForWavesPerEU: 30
; NumVGPRsForWavesPerEU: 24
; Occupancy: 10
; WaveLimiterHint : 0
; COMPUTE_PGM_RSRC2:SCRATCH_EN: 0
; COMPUTE_PGM_RSRC2:USER_SGPR: 6
; COMPUTE_PGM_RSRC2:TRAP_HANDLER: 0
; COMPUTE_PGM_RSRC2:TGID_X_EN: 1
; COMPUTE_PGM_RSRC2:TGID_Y_EN: 0
; COMPUTE_PGM_RSRC2:TGID_Z_EN: 0
; COMPUTE_PGM_RSRC2:TIDIG_COMP_CNT: 2
	.section	.text._Z21sort_key_value_kernelILj234ELj9ELb0ELb0EsiEvPT3_PT4_jj,"axG",@progbits,_Z21sort_key_value_kernelILj234ELj9ELb0ELb0EsiEvPT3_PT4_jj,comdat
	.protected	_Z21sort_key_value_kernelILj234ELj9ELb0ELb0EsiEvPT3_PT4_jj ; -- Begin function _Z21sort_key_value_kernelILj234ELj9ELb0ELb0EsiEvPT3_PT4_jj
	.globl	_Z21sort_key_value_kernelILj234ELj9ELb0ELb0EsiEvPT3_PT4_jj
	.p2align	8
	.type	_Z21sort_key_value_kernelILj234ELj9ELb0ELb0EsiEvPT3_PT4_jj,@function
_Z21sort_key_value_kernelILj234ELj9ELb0ELb0EsiEvPT3_PT4_jj: ; @_Z21sort_key_value_kernelILj234ELj9ELb0ELb0EsiEvPT3_PT4_jj
; %bb.0:
	s_load_dwordx4 s[0:3], s[4:5], 0x0
	s_load_dwordx2 s[38:39], s[4:5], 0x10
	s_mul_i32 s4, s6, 0x83a
	s_mov_b32 s5, 0
	s_lshl_b64 s[6:7], s[4:5], 1
	s_waitcnt lgkmcnt(0)
	s_add_u32 s34, s0, s6
	s_addc_u32 s35, s1, s7
	s_lshl_b64 s[0:1], s[4:5], 2
	v_mul_u32_u24_e32 v1, 9, v0
	s_add_u32 s36, s2, s0
	v_lshlrev_b32_e32 v33, 1, v1
	s_addc_u32 s37, s3, s1
	v_lshlrev_b32_e32 v34, 2, v1
	global_load_ushort v13, v33, s[34:35] offset:16
	global_load_dwordx4 v[9:12], v33, s[34:35]
	global_load_dword v31, v34, s[36:37] offset:32
	global_load_dwordx4 v[1:4], v34, s[36:37]
	global_load_dwordx4 v[5:8], v34, s[36:37] offset:16
	v_mbcnt_lo_u32_b32 v14, -1, 0
	v_mbcnt_hi_u32_b32 v14, -1, v14
	s_cmp_eq_u32 s38, 0
	s_movk_i32 s8, 0xffe4
	v_lshlrev_b32_e32 v23, 5, v0
	v_and_b32_e32 v15, 0xc0, v0
	v_subrev_co_u32_e64 v19, s[6:7], 1, v14
	v_and_b32_e32 v20, 64, v14
	s_cselect_b64 s[24:25], -1, 0
	s_cmp_eq_u32 s39, 16
	v_lshrrev_b32_e32 v16, 4, v0
	v_min_u32_e32 v15, 0xaa, v15
	v_mad_i32_i24 v25, v0, s8, v23
	v_cmp_lt_i32_e32 vcc, v19, v20
	s_cselect_b64 s[26:27], -1, 0
	v_and_b32_e32 v17, 15, v14
	v_and_b32_e32 v18, 16, v14
	v_cmp_lt_u32_e64 s[4:5], 31, v14
	v_and_b32_e32 v24, 12, v16
	v_and_b32_e32 v16, 3, v14
	v_add_u32_e32 v15, 63, v15
	v_cndmask_b32_e32 v14, v19, v14, vcc
	v_mad_u32_u24 v22, v0, 14, v25
	s_and_b64 s[24:25], s[24:25], s[26:27]
	v_mov_b32_e32 v37, 0
	v_cmp_gt_u32_e64 s[0:1], 4, v0
	v_cmp_lt_u32_e64 s[2:3], 63, v0
	v_cmp_eq_u32_e64 s[8:9], 0, v17
	v_cmp_lt_u32_e64 s[10:11], 1, v17
	v_cmp_lt_u32_e64 s[12:13], 3, v17
	v_cmp_lt_u32_e64 s[14:15], 7, v17
	v_cmp_eq_u32_e64 s[16:17], 0, v18
	v_cmp_eq_u32_e64 s[18:19], 0, v16
	v_cmp_lt_u32_e64 s[20:21], 1, v16
	v_cmp_eq_u32_e64 s[22:23], v0, v15
	v_lshlrev_b32_e32 v26, 2, v14
	v_mad_u32_u24 v21, v0, 18, v22
	v_mov_b32_e32 v36, s35
	v_mov_b32_e32 v35, s37
	s_and_b64 vcc, exec, s[24:25]
	s_waitcnt vmcnt(4)
	v_xor_b32_e32 v32, 0xffff8000, v13
	s_waitcnt vmcnt(3)
	v_xor_b32_e32 v27, 0x80008000, v9
	v_xor_b32_e32 v28, 0x80008000, v10
	;; [unrolled: 1-line block ×4, first 2 shown]
	s_cbranch_vccnz .LBB36_16
; %bb.1:
	v_lshlrev_b32_e32 v40, 2, v0
	s_movk_i32 s24, 0x3a8
	s_movk_i32 s26, 0x2be
	;; [unrolled: 1-line block ×4, first 2 shown]
	v_cmp_gt_u32_e64 s[24:25], s24, v0
	v_cmp_gt_u32_e64 s[26:27], s26, v0
	v_cmp_gt_u32_e64 s[28:29], s28, v0
	v_cmp_gt_u32_e64 s[30:31], s33, v0
	s_sub_i32 s35, s39, s38
	v_add_u32_e32 v45, 0x700, v40
	s_waitcnt vmcnt(1)
	v_mov_b32_e32 v13, v1
	v_mov_b32_e32 v14, v2
	;; [unrolled: 1-line block ×4, first 2 shown]
	s_waitcnt vmcnt(0)
	v_mov_b32_e32 v17, v5
	v_mov_b32_e32 v18, v6
	;; [unrolled: 1-line block ×10, first 2 shown]
	s_branch .LBB36_3
.LBB36_2:                               ;   in Loop: Header=BB36_3 Depth=1
	s_andn2_b64 vcc, exec, s[40:41]
	s_mov_b32 s35, s37
	s_cbranch_vccz .LBB36_17
.LBB36_3:                               ; =>This Inner Loop Header: Depth=1
	v_mov_b32_e32 v49, v76
	v_mov_b32_e32 v38, v77
	;; [unrolled: 1-line block ×10, first 2 shown]
	ds_write2_b32 v40, v37, v37 offset1:234
	ds_write2_b32 v45, v37, v37 offset0:20 offset1:254
	s_and_saveexec_b64 s[40:41], s[24:25]
	s_cbranch_execz .LBB36_8
; %bb.4:                                ;   in Loop: Header=BB36_3 Depth=1
	ds_write_b32 v40, v37 offset:3744
	s_and_b64 exec, exec, s[26:27]
	s_cbranch_execz .LBB36_8
; %bb.5:                                ;   in Loop: Header=BB36_3 Depth=1
	ds_write_b32 v40, v37 offset:4680
	s_and_b64 exec, exec, s[28:29]
	;; [unrolled: 4-line block ×3, first 2 shown]
; %bb.7:                                ;   in Loop: Header=BB36_3 Depth=1
	ds_write_b32 v40, v37 offset:6552
.LBB36_8:                               ;   in Loop: Header=BB36_3 Depth=1
	s_or_b64 exec, exec, s[40:41]
	s_min_u32 s37, s35, 4
	s_lshl_b32 s37, -1, s37
	s_not_b32 s37, s37
	v_lshrrev_b32_sdwa v13, s38, v9 dst_sel:DWORD dst_unused:UNUSED_PAD src0_sel:DWORD src1_sel:WORD_0
	v_and_b32_e32 v13, s37, v13
	v_and_b32_e32 v14, 7, v13
	v_lshrrev_b32_e32 v13, 2, v13
	v_mad_u32_u24 v14, v14, s33, v0
	v_and_b32_e32 v13, 30, v13
	v_lshl_add_u32 v60, v14, 2, v13
	ds_read_u16 v55, v60
	v_lshrrev_b32_e32 v50, 16, v9
	v_lshrrev_b32_e32 v51, 16, v10
	;; [unrolled: 1-line block ×4, first 2 shown]
	s_waitcnt lgkmcnt(0)
	v_add_u16_e32 v13, 1, v55
	ds_write_b16 v60, v13
	v_lshrrev_b32_e32 v13, s38, v50
	v_and_b32_e32 v13, s37, v13
	v_and_b32_e32 v14, 7, v13
	v_lshrrev_b32_e32 v13, 2, v13
	v_mad_u32_u24 v14, v14, s33, v0
	v_and_b32_e32 v13, 30, v13
	v_lshl_add_u32 v62, v14, 2, v13
	ds_read_u16 v59, v62
	s_waitcnt lgkmcnt(0)
	v_add_u16_e32 v13, 1, v59
	ds_write_b16 v62, v13
	v_lshrrev_b32_sdwa v13, s38, v10 dst_sel:DWORD dst_unused:UNUSED_PAD src0_sel:DWORD src1_sel:WORD_0
	v_and_b32_e32 v13, s37, v13
	v_and_b32_e32 v14, 7, v13
	v_lshrrev_b32_e32 v13, 2, v13
	v_mad_u32_u24 v14, v14, s33, v0
	v_and_b32_e32 v13, 30, v13
	v_lshl_add_u32 v63, v14, 2, v13
	ds_read_u16 v61, v63
	s_waitcnt lgkmcnt(0)
	v_add_u16_e32 v13, 1, v61
	ds_write_b16 v63, v13
	v_lshrrev_b32_e32 v13, s38, v51
	v_and_b32_e32 v13, s37, v13
	v_and_b32_e32 v14, 7, v13
	v_lshrrev_b32_e32 v13, 2, v13
	v_mad_u32_u24 v14, v14, s33, v0
	v_and_b32_e32 v13, 30, v13
	v_lshl_add_u32 v65, v14, 2, v13
	ds_read_u16 v64, v65
	s_waitcnt lgkmcnt(0)
	v_add_u16_e32 v13, 1, v64
	ds_write_b16 v65, v13
	v_lshrrev_b32_sdwa v13, s38, v11 dst_sel:DWORD dst_unused:UNUSED_PAD src0_sel:DWORD src1_sel:WORD_0
	v_and_b32_e32 v13, s37, v13
	v_and_b32_e32 v14, 7, v13
	v_lshrrev_b32_e32 v13, 2, v13
	v_mad_u32_u24 v14, v14, s33, v0
	v_and_b32_e32 v13, 30, v13
	v_lshl_add_u32 v66, v14, 2, v13
	ds_read_u16 v67, v66
	;; [unrolled: 22-line block ×4, first 2 shown]
	s_waitcnt lgkmcnt(0)
	v_add_u16_e32 v13, 1, v74
	ds_write_b16 v75, v13
	s_waitcnt lgkmcnt(0)
	s_barrier
	ds_read2_b64 v[17:20], v23 offset1:1
	ds_read2_b64 v[13:16], v23 offset0:2 offset1:3
	s_waitcnt lgkmcnt(1)
	v_add_u32_e32 v54, v18, v17
	v_add3_u32 v54, v54, v19, v20
	s_waitcnt lgkmcnt(0)
	v_add3_u32 v54, v54, v13, v14
	v_add3_u32 v16, v54, v15, v16
	s_nop 1
	v_mov_b32_dpp v54, v16 row_shr:1 row_mask:0xf bank_mask:0xf
	v_cndmask_b32_e64 v54, v54, 0, s[8:9]
	v_add_u32_e32 v16, v54, v16
	s_nop 1
	v_mov_b32_dpp v54, v16 row_shr:2 row_mask:0xf bank_mask:0xf
	v_cndmask_b32_e64 v54, 0, v54, s[10:11]
	v_add_u32_e32 v16, v16, v54
	;; [unrolled: 4-line block ×4, first 2 shown]
	s_nop 1
	v_mov_b32_dpp v54, v16 row_bcast:15 row_mask:0xf bank_mask:0xf
	v_cndmask_b32_e64 v54, v54, 0, s[16:17]
	v_add_u32_e32 v16, v16, v54
	s_nop 1
	v_mov_b32_dpp v54, v16 row_bcast:31 row_mask:0xf bank_mask:0xf
	v_cndmask_b32_e64 v54, 0, v54, s[4:5]
	v_add_u32_e32 v16, v16, v54
	s_and_saveexec_b64 s[40:41], s[22:23]
; %bb.9:                                ;   in Loop: Header=BB36_3 Depth=1
	ds_write_b32 v24, v16 offset:7488
; %bb.10:                               ;   in Loop: Header=BB36_3 Depth=1
	s_or_b64 exec, exec, s[40:41]
	s_waitcnt lgkmcnt(0)
	s_barrier
	s_and_saveexec_b64 s[40:41], s[0:1]
	s_cbranch_execz .LBB36_12
; %bb.11:                               ;   in Loop: Header=BB36_3 Depth=1
	ds_read_b32 v54, v25 offset:7488
	s_waitcnt lgkmcnt(0)
	s_nop 0
	v_mov_b32_dpp v56, v54 row_shr:1 row_mask:0xf bank_mask:0xf
	v_cndmask_b32_e64 v56, v56, 0, s[18:19]
	v_add_u32_e32 v54, v56, v54
	s_nop 1
	v_mov_b32_dpp v56, v54 row_shr:2 row_mask:0xf bank_mask:0xf
	v_cndmask_b32_e64 v56, 0, v56, s[20:21]
	v_add_u32_e32 v54, v54, v56
	ds_write_b32 v25, v54 offset:7488
.LBB36_12:                              ;   in Loop: Header=BB36_3 Depth=1
	s_or_b64 exec, exec, s[40:41]
	v_mov_b32_e32 v76, 0
	s_waitcnt lgkmcnt(0)
	s_barrier
	s_and_saveexec_b64 s[40:41], s[2:3]
; %bb.13:                               ;   in Loop: Header=BB36_3 Depth=1
	ds_read_b32 v76, v24 offset:7484
; %bb.14:                               ;   in Loop: Header=BB36_3 Depth=1
	s_or_b64 exec, exec, s[40:41]
	s_waitcnt lgkmcnt(0)
	v_add_u32_e32 v16, v76, v16
	ds_bpermute_b32 v16, v26, v16
	ds_read_b32 v77, v37 offset:7500
	s_add_i32 s38, s38, 4
	v_mov_b32_e32 v54, v9
	v_mov_b32_e32 v58, v10
	s_waitcnt lgkmcnt(1)
	v_cndmask_b32_e64 v16, v16, v76, s[6:7]
	s_waitcnt lgkmcnt(0)
	v_lshl_add_u32 v16, v77, 16, v16
	v_add_u32_e32 v17, v16, v17
	v_add_u32_e32 v18, v17, v18
	;; [unrolled: 1-line block ×7, first 2 shown]
	ds_write2_b64 v23, v[16:17], v[18:19] offset1:1
	ds_write2_b64 v23, v[76:77], v[13:14] offset0:2 offset1:3
	s_waitcnt lgkmcnt(0)
	s_barrier
	ds_read_u16 v13, v60
	ds_read_u16 v14, v62
	;; [unrolled: 1-line block ×8, first 2 shown]
	s_waitcnt lgkmcnt(7)
	v_add_u32_sdwa v66, v13, v55 dst_sel:DWORD dst_unused:UNUSED_PAD src0_sel:DWORD src1_sel:WORD_0
	ds_read_u16 v13, v75
	s_waitcnt lgkmcnt(7)
	v_add_u32_sdwa v65, v14, v59 dst_sel:DWORD dst_unused:UNUSED_PAD src0_sel:DWORD src1_sel:WORD_0
	s_waitcnt lgkmcnt(6)
	v_add_u32_sdwa v63, v15, v61 dst_sel:DWORD dst_unused:UNUSED_PAD src0_sel:DWORD src1_sel:WORD_0
	;; [unrolled: 2-line block ×8, first 2 shown]
	v_mov_b32_e32 v57, v11
	v_mov_b32_e32 v56, v12
	s_cmp_ge_u32 s38, s39
	v_lshlrev_b32_e32 v75, 1, v66
	v_lshlrev_b32_e32 v74, 1, v65
	;; [unrolled: 1-line block ×9, first 2 shown]
	s_mov_b64 s[40:41], -1
	v_readfirstlane_b32 s37, v0
                                        ; implicit-def: $vgpr76
                                        ; implicit-def: $vgpr77
                                        ; implicit-def: $vgpr20
                                        ; implicit-def: $vgpr18
                                        ; implicit-def: $vgpr16
                                        ; implicit-def: $vgpr14
	s_cbranch_scc1 .LBB36_2
; %bb.15:                               ;   in Loop: Header=BB36_3 Depth=1
	v_lshl_add_u32 v13, v66, 1, v75
	s_barrier
	ds_write_b16 v75, v9
	ds_write_b16 v74, v50
	;; [unrolled: 1-line block ×9, first 2 shown]
	s_waitcnt lgkmcnt(0)
	s_barrier
	ds_read_b128 v[9:12], v22
	ds_read_u16 v76, v22 offset:16
	s_waitcnt lgkmcnt(0)
	s_barrier
	ds_write_b32 v13, v48
	v_lshl_add_u32 v13, v65, 1, v74
	ds_write_b32 v13, v47
	v_lshl_add_u32 v13, v63, 1, v73
	;; [unrolled: 2-line block ×8, first 2 shown]
	ds_write_b32 v13, v38
	s_waitcnt lgkmcnt(0)
	s_barrier
	ds_read2_b32 v[13:14], v21 offset1:1
	ds_read2_b32 v[15:16], v21 offset0:2 offset1:3
	ds_read2_b32 v[17:18], v21 offset0:4 offset1:5
	;; [unrolled: 1-line block ×3, first 2 shown]
	ds_read_b32 v77, v21 offset:32
	s_add_i32 s37, s35, -4
	s_mov_b64 s[40:41], 0
	s_waitcnt lgkmcnt(0)
	s_barrier
	s_branch .LBB36_2
.LBB36_16:
	s_mov_b64 s[24:25], -1
                                        ; implicit-def: $vgpr40
                                        ; implicit-def: $vgpr12
	s_branch .LBB36_18
.LBB36_17:
	v_lshl_add_u32 v13, v66, 1, v75
	s_barrier
	ds_write_b16 v75, v54
	ds_write_b16 v74, v50
	;; [unrolled: 1-line block ×9, first 2 shown]
	s_waitcnt lgkmcnt(0)
	s_barrier
	ds_read_b128 v[9:12], v22
	ds_read_u16 v40, v22 offset:16
	s_waitcnt lgkmcnt(0)
	s_barrier
	ds_write_b32 v13, v48
	v_lshl_add_u32 v13, v65, 1, v74
	ds_write_b32 v13, v47
	v_lshl_add_u32 v13, v63, 1, v73
	;; [unrolled: 2-line block ×8, first 2 shown]
	ds_write_b32 v13, v38
	s_waitcnt lgkmcnt(0)
	s_barrier
	s_mov_b64 s[24:25], 0
.LBB36_18:
	v_add_co_u32_e32 v15, vcc, s34, v33
	v_addc_co_u32_e32 v16, vcc, 0, v36, vcc
	v_add_co_u32_e32 v13, vcc, s36, v34
	v_addc_co_u32_e32 v14, vcc, 0, v35, vcc
	s_and_b64 vcc, exec, s[24:25]
	s_cbranch_vccz .LBB36_35
; %bb.19:
	v_sub_u32_e32 v9, 0, v23
	s_movk_i32 s24, 0x3a8
	s_movk_i32 s26, 0x2be
	s_movk_i32 s28, 0x1d4
	s_movk_i32 s33, 0xea
	v_add_u32_e32 v40, v21, v9
	v_cmp_gt_u32_e64 s[24:25], s24, v0
	v_cmp_gt_u32_e64 s[26:27], s26, v0
	;; [unrolled: 1-line block ×4, first 2 shown]
	v_mov_b32_e32 v39, 0
	v_add_u32_e32 v41, 0x700, v40
	v_mov_b32_e32 v42, 0
	v_mov_b32_e32 v50, v27
	;; [unrolled: 1-line block ×5, first 2 shown]
	s_branch .LBB36_21
.LBB36_20:                              ;   in Loop: Header=BB36_21 Depth=1
	s_andn2_b64 vcc, exec, s[34:35]
	v_mov_b32_e32 v50, v9
	v_mov_b32_e32 v49, v10
	;; [unrolled: 1-line block ×4, first 2 shown]
	s_cbranch_vccz .LBB36_34
.LBB36_21:                              ; =>This Inner Loop Header: Depth=1
	v_mov_b32_e32 v38, v32
	s_waitcnt vmcnt(2)
	v_mov_b32_e32 v17, v31
	s_waitcnt vmcnt(0)
	v_mov_b32_e32 v18, v8
	v_mov_b32_e32 v19, v7
	;; [unrolled: 1-line block ×8, first 2 shown]
	ds_write2_b32 v40, v39, v39 offset1:234
	ds_write2_b32 v41, v39, v39 offset0:20 offset1:254
	s_and_saveexec_b64 s[34:35], s[24:25]
	s_cbranch_execz .LBB36_26
; %bb.22:                               ;   in Loop: Header=BB36_21 Depth=1
	ds_write_b32 v40, v39 offset:3744
	s_and_b64 exec, exec, s[26:27]
	s_cbranch_execz .LBB36_26
; %bb.23:                               ;   in Loop: Header=BB36_21 Depth=1
	ds_write_b32 v40, v39 offset:4680
	s_and_b64 exec, exec, s[28:29]
	;; [unrolled: 4-line block ×3, first 2 shown]
; %bb.25:                               ;   in Loop: Header=BB36_21 Depth=1
	ds_write_b32 v40, v39 offset:6552
.LBB36_26:                              ;   in Loop: Header=BB36_21 Depth=1
	s_or_b64 exec, exec, s[34:35]
	v_and_b32_e32 v1, 0xffff, v50
	v_lshrrev_b32_e32 v2, v42, v1
	v_bfe_u32 v1, v1, v42, 3
	v_lshrrev_b32_e32 v2, 2, v2
	v_mad_u32_u24 v1, v1, s33, v0
	v_and_b32_e32 v2, 2, v2
	v_lshl_or_b32 v11, v1, 2, v2
	ds_read_u16 v9, v11
	v_lshrrev_b32_e32 v43, 16, v50
	v_lshrrev_b32_e32 v1, v42, v43
	;; [unrolled: 1-line block ×3, first 2 shown]
	v_and_b32_e32 v1, 2, v1
	s_waitcnt lgkmcnt(0)
	v_add_u16_e32 v2, 1, v9
	ds_write_b16 v11, v2
	v_bfe_u32 v2, v43, v42, 3
	v_mad_u32_u24 v2, v2, s33, v0
	v_lshl_or_b32 v31, v2, 2, v1
	ds_read_u16 v10, v31
	v_lshrrev_b32_e32 v44, 16, v49
	v_lshrrev_b32_e32 v45, 16, v48
	;; [unrolled: 1-line block ×3, first 2 shown]
	s_waitcnt lgkmcnt(0)
	v_add_u16_e32 v1, 1, v10
	ds_write_b16 v31, v1
	v_and_b32_e32 v1, 0xffff, v49
	v_lshrrev_b32_e32 v2, v42, v1
	v_bfe_u32 v1, v1, v42, 3
	v_lshrrev_b32_e32 v2, 2, v2
	v_mad_u32_u24 v1, v1, s33, v0
	v_and_b32_e32 v2, 2, v2
	v_lshl_or_b32 v55, v1, 2, v2
	ds_read_u16 v12, v55
	v_bfe_u32 v2, v44, v42, 3
	v_mad_u32_u24 v2, v2, s33, v0
	s_waitcnt lgkmcnt(0)
	v_add_u16_e32 v1, 1, v12
	ds_write_b16 v55, v1
	v_lshrrev_b32_e32 v1, v42, v44
	v_lshrrev_b32_e32 v1, 2, v1
	v_and_b32_e32 v1, 2, v1
	v_lshl_or_b32 v57, v2, 2, v1
	ds_read_u16 v32, v57
	s_waitcnt lgkmcnt(0)
	v_add_u16_e32 v1, 1, v32
	ds_write_b16 v57, v1
	v_and_b32_e32 v1, 0xffff, v48
	v_lshrrev_b32_e32 v2, v42, v1
	v_bfe_u32 v1, v1, v42, 3
	v_lshrrev_b32_e32 v2, 2, v2
	v_mad_u32_u24 v1, v1, s33, v0
	v_and_b32_e32 v2, 2, v2
	v_lshl_or_b32 v58, v1, 2, v2
	ds_read_u16 v56, v58
	v_bfe_u32 v2, v45, v42, 3
	v_mad_u32_u24 v2, v2, s33, v0
	s_waitcnt lgkmcnt(0)
	v_add_u16_e32 v1, 1, v56
	ds_write_b16 v58, v1
	v_lshrrev_b32_e32 v1, v42, v45
	v_lshrrev_b32_e32 v1, 2, v1
	v_and_b32_e32 v1, 2, v1
	v_lshl_or_b32 v60, v2, 2, v1
	ds_read_u16 v59, v60
	;; [unrolled: 21-line block ×3, first 2 shown]
	s_waitcnt lgkmcnt(0)
	v_add_u16_e32 v1, 1, v65
	ds_write_b16 v62, v1
	v_and_b32_e32 v1, 0xffff, v38
	v_lshrrev_b32_e32 v2, v42, v1
	v_bfe_u32 v1, v1, v42, 3
	v_lshrrev_b32_e32 v2, 2, v2
	v_mad_u32_u24 v1, v1, s33, v0
	v_and_b32_e32 v2, 2, v2
	v_lshl_or_b32 v67, v1, 2, v2
	ds_read_u16 v66, v67
	s_waitcnt lgkmcnt(0)
	v_add_u16_e32 v1, 1, v66
	ds_write_b16 v67, v1
	s_waitcnt lgkmcnt(0)
	s_barrier
	ds_read2_b64 v[5:8], v23 offset1:1
	ds_read2_b64 v[1:4], v23 offset0:2 offset1:3
	s_waitcnt lgkmcnt(1)
	v_add_u32_e32 v51, v6, v5
	v_add3_u32 v51, v51, v7, v8
	s_waitcnt lgkmcnt(0)
	v_add3_u32 v51, v51, v1, v2
	v_add3_u32 v4, v51, v3, v4
	s_nop 1
	v_mov_b32_dpp v51, v4 row_shr:1 row_mask:0xf bank_mask:0xf
	v_cndmask_b32_e64 v51, v51, 0, s[8:9]
	v_add_u32_e32 v4, v51, v4
	s_nop 1
	v_mov_b32_dpp v51, v4 row_shr:2 row_mask:0xf bank_mask:0xf
	v_cndmask_b32_e64 v51, 0, v51, s[10:11]
	v_add_u32_e32 v4, v4, v51
	;; [unrolled: 4-line block ×4, first 2 shown]
	s_nop 1
	v_mov_b32_dpp v51, v4 row_bcast:15 row_mask:0xf bank_mask:0xf
	v_cndmask_b32_e64 v51, v51, 0, s[16:17]
	v_add_u32_e32 v4, v4, v51
	s_nop 1
	v_mov_b32_dpp v51, v4 row_bcast:31 row_mask:0xf bank_mask:0xf
	v_cndmask_b32_e64 v51, 0, v51, s[4:5]
	v_add_u32_e32 v4, v4, v51
	s_and_saveexec_b64 s[34:35], s[22:23]
; %bb.27:                               ;   in Loop: Header=BB36_21 Depth=1
	ds_write_b32 v24, v4 offset:7488
; %bb.28:                               ;   in Loop: Header=BB36_21 Depth=1
	s_or_b64 exec, exec, s[34:35]
	s_waitcnt lgkmcnt(0)
	s_barrier
	s_and_saveexec_b64 s[34:35], s[0:1]
	s_cbranch_execz .LBB36_30
; %bb.29:                               ;   in Loop: Header=BB36_21 Depth=1
	ds_read_b32 v51, v25 offset:7488
	s_waitcnt lgkmcnt(0)
	s_nop 0
	v_mov_b32_dpp v52, v51 row_shr:1 row_mask:0xf bank_mask:0xf
	v_cndmask_b32_e64 v52, v52, 0, s[18:19]
	v_add_u32_e32 v51, v52, v51
	s_nop 1
	v_mov_b32_dpp v52, v51 row_shr:2 row_mask:0xf bank_mask:0xf
	v_cndmask_b32_e64 v52, 0, v52, s[20:21]
	v_add_u32_e32 v51, v51, v52
	ds_write_b32 v25, v51 offset:7488
.LBB36_30:                              ;   in Loop: Header=BB36_21 Depth=1
	s_or_b64 exec, exec, s[34:35]
	v_mov_b32_e32 v63, 0
	s_waitcnt lgkmcnt(0)
	s_barrier
	s_and_saveexec_b64 s[34:35], s[2:3]
; %bb.31:                               ;   in Loop: Header=BB36_21 Depth=1
	ds_read_b32 v63, v24 offset:7484
; %bb.32:                               ;   in Loop: Header=BB36_21 Depth=1
	s_or_b64 exec, exec, s[34:35]
	s_waitcnt lgkmcnt(0)
	v_add_u32_e32 v4, v63, v4
	ds_bpermute_b32 v4, v26, v4
	ds_read_b32 v68, v39 offset:7500
	v_cmp_lt_u32_e32 vcc, 11, v42
	v_mov_b32_e32 v52, v50
	v_mov_b32_e32 v54, v49
	s_waitcnt lgkmcnt(1)
	v_cndmask_b32_e64 v4, v4, v63, s[6:7]
	s_waitcnt lgkmcnt(0)
	v_lshl_add_u32 v4, v68, 16, v4
	v_add_u32_e32 v5, v4, v5
	v_add_u32_e32 v6, v5, v6
	v_add_u32_e32 v7, v6, v7
	v_add_u32_e32 v68, v7, v8
	v_add_u32_e32 v69, v68, v1
	v_add_u32_e32 v1, v69, v2
	v_add_u32_e32 v2, v1, v3
	ds_write2_b64 v23, v[4:5], v[6:7] offset1:1
	ds_write2_b64 v23, v[68:69], v[1:2] offset0:2 offset1:3
	s_waitcnt lgkmcnt(0)
	s_barrier
	ds_read_u16 v1, v11
	ds_read_u16 v2, v31
	;; [unrolled: 1-line block ×8, first 2 shown]
	s_waitcnt lgkmcnt(7)
	v_add_u32_sdwa v63, v1, v9 dst_sel:DWORD dst_unused:UNUSED_PAD src0_sel:DWORD src1_sel:WORD_0
	ds_read_u16 v1, v67
	v_mov_b32_e32 v53, v48
	v_mov_b32_e32 v51, v47
	s_waitcnt lgkmcnt(7)
	v_add_u32_sdwa v62, v2, v10 dst_sel:DWORD dst_unused:UNUSED_PAD src0_sel:DWORD src1_sel:WORD_0
	s_waitcnt lgkmcnt(6)
	v_add_u32_sdwa v60, v3, v12 dst_sel:DWORD dst_unused:UNUSED_PAD src0_sel:DWORD src1_sel:WORD_0
	;; [unrolled: 2-line block ×8, first 2 shown]
	s_mov_b64 s[34:35], -1
	s_and_b64 vcc, exec, vcc
	v_mov_b32_e32 v12, v30
	v_mov_b32_e32 v11, v29
	;; [unrolled: 1-line block ×4, first 2 shown]
                                        ; implicit-def: $vgpr32
                                        ; implicit-def: $vgpr31
                                        ; implicit-def: $vgpr8
                                        ; implicit-def: $vgpr4
	s_cbranch_vccnz .LBB36_20
; %bb.33:                               ;   in Loop: Header=BB36_21 Depth=1
	v_lshlrev_b32_e32 v1, 1, v63
	s_barrier
	ds_write_b16 v1, v50
	v_lshlrev_b32_e32 v2, 1, v62
	v_lshlrev_b32_e32 v3, 1, v60
	;; [unrolled: 1-line block ×8, first 2 shown]
	v_add_u32_e32 v1, v1, v1
	ds_write_b16 v2, v43
	ds_write_b16 v3, v49
	;; [unrolled: 1-line block ×8, first 2 shown]
	s_waitcnt lgkmcnt(0)
	s_barrier
	ds_read_b128 v[9:12], v22
	ds_read_u16 v32, v22 offset:16
	s_waitcnt lgkmcnt(0)
	s_barrier
	ds_write_b32 v1, v37
	v_add_u32_e32 v1, v2, v2
	ds_write_b32 v1, v36
	v_add_u32_e32 v1, v3, v3
	;; [unrolled: 2-line block ×8, first 2 shown]
	ds_write_b32 v1, v17
	s_waitcnt lgkmcnt(0)
	s_barrier
	ds_read2_b32 v[1:2], v21 offset1:1
	ds_read2_b32 v[3:4], v21 offset0:2 offset1:3
	ds_read2_b32 v[5:6], v21 offset0:4 offset1:5
	;; [unrolled: 1-line block ×3, first 2 shown]
	ds_read_b32 v31, v21 offset:32
	v_add_u32_e32 v42, 4, v42
	s_mov_b64 s[34:35], 0
	s_waitcnt lgkmcnt(0)
	s_barrier
	s_branch .LBB36_20
.LBB36_34:
	v_lshlrev_b32_e32 v0, 1, v63
	s_barrier
	ds_write_b16 v0, v52
	v_lshlrev_b32_e32 v1, 1, v62
	v_lshlrev_b32_e32 v2, 1, v60
	;; [unrolled: 1-line block ×8, first 2 shown]
	v_add_u32_e32 v0, v0, v0
	ds_write_b16 v1, v43
	ds_write_b16 v2, v54
	;; [unrolled: 1-line block ×8, first 2 shown]
	s_waitcnt lgkmcnt(0)
	s_barrier
	ds_read_b128 v[9:12], v22
	ds_read_u16 v40, v22 offset:16
	s_waitcnt lgkmcnt(0)
	s_barrier
	ds_write_b32 v0, v37
	v_add_u32_e32 v0, v1, v1
	ds_write_b32 v0, v36
	v_add_u32_e32 v0, v2, v2
	;; [unrolled: 2-line block ×8, first 2 shown]
	ds_write_b32 v0, v17
	s_waitcnt lgkmcnt(0)
	s_barrier
.LBB36_35:
	s_waitcnt vmcnt(1)
	ds_read2_b32 v[0:1], v21 offset1:1
	ds_read2_b32 v[2:3], v21 offset0:2 offset1:3
	s_waitcnt vmcnt(0)
	ds_read2_b32 v[4:5], v21 offset0:4 offset1:5
	ds_read2_b32 v[6:7], v21 offset0:6 offset1:7
	ds_read_b32 v17, v21 offset:32
	v_xor_b32_e32 v8, 0x80008000, v9
	v_xor_b32_e32 v9, 0x80008000, v10
	;; [unrolled: 1-line block ×5, first 2 shown]
	global_store_dwordx4 v[15:16], v[8:11], off
	global_store_short v[15:16], v18, off offset:16
	s_waitcnt lgkmcnt(3)
	global_store_dwordx4 v[13:14], v[0:3], off
	s_waitcnt lgkmcnt(1)
	global_store_dwordx4 v[13:14], v[4:7], off offset:16
	s_waitcnt lgkmcnt(0)
	global_store_dword v[13:14], v17, off offset:32
	s_endpgm
	.section	.rodata,"a",@progbits
	.p2align	6, 0x0
	.amdhsa_kernel _Z21sort_key_value_kernelILj234ELj9ELb0ELb0EsiEvPT3_PT4_jj
		.amdhsa_group_segment_fixed_size 8432
		.amdhsa_private_segment_fixed_size 0
		.amdhsa_kernarg_size 24
		.amdhsa_user_sgpr_count 6
		.amdhsa_user_sgpr_private_segment_buffer 1
		.amdhsa_user_sgpr_dispatch_ptr 0
		.amdhsa_user_sgpr_queue_ptr 0
		.amdhsa_user_sgpr_kernarg_segment_ptr 1
		.amdhsa_user_sgpr_dispatch_id 0
		.amdhsa_user_sgpr_flat_scratch_init 0
		.amdhsa_user_sgpr_private_segment_size 0
		.amdhsa_uses_dynamic_stack 0
		.amdhsa_system_sgpr_private_segment_wavefront_offset 0
		.amdhsa_system_sgpr_workgroup_id_x 1
		.amdhsa_system_sgpr_workgroup_id_y 0
		.amdhsa_system_sgpr_workgroup_id_z 0
		.amdhsa_system_sgpr_workgroup_info 0
		.amdhsa_system_vgpr_workitem_id 0
		.amdhsa_next_free_vgpr 78
		.amdhsa_next_free_sgpr 77
		.amdhsa_reserve_vcc 1
		.amdhsa_reserve_flat_scratch 0
		.amdhsa_float_round_mode_32 0
		.amdhsa_float_round_mode_16_64 0
		.amdhsa_float_denorm_mode_32 3
		.amdhsa_float_denorm_mode_16_64 3
		.amdhsa_dx10_clamp 1
		.amdhsa_ieee_mode 1
		.amdhsa_fp16_overflow 0
		.amdhsa_exception_fp_ieee_invalid_op 0
		.amdhsa_exception_fp_denorm_src 0
		.amdhsa_exception_fp_ieee_div_zero 0
		.amdhsa_exception_fp_ieee_overflow 0
		.amdhsa_exception_fp_ieee_underflow 0
		.amdhsa_exception_fp_ieee_inexact 0
		.amdhsa_exception_int_div_zero 0
	.end_amdhsa_kernel
	.section	.text._Z21sort_key_value_kernelILj234ELj9ELb0ELb0EsiEvPT3_PT4_jj,"axG",@progbits,_Z21sort_key_value_kernelILj234ELj9ELb0ELb0EsiEvPT3_PT4_jj,comdat
.Lfunc_end36:
	.size	_Z21sort_key_value_kernelILj234ELj9ELb0ELb0EsiEvPT3_PT4_jj, .Lfunc_end36-_Z21sort_key_value_kernelILj234ELj9ELb0ELb0EsiEvPT3_PT4_jj
                                        ; -- End function
	.set _Z21sort_key_value_kernelILj234ELj9ELb0ELb0EsiEvPT3_PT4_jj.num_vgpr, 78
	.set _Z21sort_key_value_kernelILj234ELj9ELb0ELb0EsiEvPT3_PT4_jj.num_agpr, 0
	.set _Z21sort_key_value_kernelILj234ELj9ELb0ELb0EsiEvPT3_PT4_jj.numbered_sgpr, 42
	.set _Z21sort_key_value_kernelILj234ELj9ELb0ELb0EsiEvPT3_PT4_jj.num_named_barrier, 0
	.set _Z21sort_key_value_kernelILj234ELj9ELb0ELb0EsiEvPT3_PT4_jj.private_seg_size, 0
	.set _Z21sort_key_value_kernelILj234ELj9ELb0ELb0EsiEvPT3_PT4_jj.uses_vcc, 1
	.set _Z21sort_key_value_kernelILj234ELj9ELb0ELb0EsiEvPT3_PT4_jj.uses_flat_scratch, 0
	.set _Z21sort_key_value_kernelILj234ELj9ELb0ELb0EsiEvPT3_PT4_jj.has_dyn_sized_stack, 0
	.set _Z21sort_key_value_kernelILj234ELj9ELb0ELb0EsiEvPT3_PT4_jj.has_recursion, 0
	.set _Z21sort_key_value_kernelILj234ELj9ELb0ELb0EsiEvPT3_PT4_jj.has_indirect_call, 0
	.section	.AMDGPU.csdata,"",@progbits
; Kernel info:
; codeLenInByte = 4780
; TotalNumSgprs: 46
; NumVgprs: 78
; ScratchSize: 0
; MemoryBound: 0
; FloatMode: 240
; IeeeMode: 1
; LDSByteSize: 8432 bytes/workgroup (compile time only)
; SGPRBlocks: 10
; VGPRBlocks: 19
; NumSGPRsForWavesPerEU: 81
; NumVGPRsForWavesPerEU: 78
; Occupancy: 3
; WaveLimiterHint : 0
; COMPUTE_PGM_RSRC2:SCRATCH_EN: 0
; COMPUTE_PGM_RSRC2:USER_SGPR: 6
; COMPUTE_PGM_RSRC2:TRAP_HANDLER: 0
; COMPUTE_PGM_RSRC2:TGID_X_EN: 1
; COMPUTE_PGM_RSRC2:TGID_Y_EN: 0
; COMPUTE_PGM_RSRC2:TGID_Z_EN: 0
; COMPUTE_PGM_RSRC2:TIDIG_COMP_CNT: 0
	.section	.text._Z21sort_key_value_kernelILj100ELj3ELb0ELb0EtiEvPT3_PT4_jj,"axG",@progbits,_Z21sort_key_value_kernelILj100ELj3ELb0ELb0EtiEvPT3_PT4_jj,comdat
	.protected	_Z21sort_key_value_kernelILj100ELj3ELb0ELb0EtiEvPT3_PT4_jj ; -- Begin function _Z21sort_key_value_kernelILj100ELj3ELb0ELb0EtiEvPT3_PT4_jj
	.globl	_Z21sort_key_value_kernelILj100ELj3ELb0ELb0EtiEvPT3_PT4_jj
	.p2align	8
	.type	_Z21sort_key_value_kernelILj100ELj3ELb0ELb0EtiEvPT3_PT4_jj,@function
_Z21sort_key_value_kernelILj100ELj3ELb0ELb0EtiEvPT3_PT4_jj: ; @_Z21sort_key_value_kernelILj100ELj3ELb0ELb0EtiEvPT3_PT4_jj
; %bb.0:
	s_load_dwordx4 s[0:3], s[4:5], 0x0
	s_load_dwordx2 s[44:45], s[4:5], 0x10
	s_mul_i32 s4, s6, 0x12c
	s_mov_b32 s5, 0
	s_lshl_b64 s[6:7], s[4:5], 1
	s_waitcnt lgkmcnt(0)
	s_add_u32 s40, s0, s6
	s_addc_u32 s41, s1, s7
	s_lshl_b64 s[0:1], s[4:5], 2
	v_mul_u32_u24_e32 v1, 3, v0
	s_add_u32 s42, s2, s0
	v_lshlrev_b32_e32 v12, 1, v1
	s_addc_u32 s43, s3, s1
	v_lshlrev_b32_e32 v13, 2, v1
	global_load_dword v24, v12, s[40:41]
	global_load_ushort v23, v12, s[40:41] offset:4
	global_load_dwordx3 v[9:11], v13, s[42:43]
	v_mbcnt_lo_u32_b32 v1, -1, 0
	v_mbcnt_hi_u32_b32 v1, -1, v1
	v_and_b32_e32 v2, 15, v1
	s_cmp_eq_u32 s44, 0
	v_cmp_eq_u32_e64 s[20:21], 0, v2
	v_cmp_lt_u32_e64 s[18:19], 1, v2
	v_cmp_lt_u32_e64 s[16:17], 3, v2
	;; [unrolled: 1-line block ×3, first 2 shown]
	v_and_b32_e32 v2, 16, v1
	s_cselect_b64 s[0:1], -1, 0
	s_cmp_eq_u32 s45, 16
	v_cmp_eq_u32_e64 s[12:13], 0, v2
	v_and_b32_e32 v2, 64, v0
	s_cselect_b64 s[2:3], -1, 0
	v_min_u32_e32 v2, 36, v2
	s_and_b64 s[24:25], s[0:1], s[2:3]
	s_movk_i32 s0, 0x320
	v_add_u32_e32 v2, 63, v2
	v_cmp_gt_u32_e64 s[22:23], s0, v0
	v_cmp_eq_u32_e64 s[10:11], v0, v2
	v_subrev_co_u32_e64 v2, s[0:1], 1, v1
	v_and_b32_e32 v3, 64, v1
	v_lshlrev_b32_e32 v17, 5, v0
	v_cmp_lt_i32_e32 vcc, v2, v3
	s_movk_i32 s6, 0xffe4
	v_cndmask_b32_e32 v2, v2, v1, vcc
	v_mad_i32_i24 v21, v0, s6, v17
	v_cmp_lt_u32_e64 s[8:9], 31, v1
	v_lshlrev_b32_e32 v19, 2, v2
	v_lshrrev_b32_e32 v2, 4, v0
	v_and_b32_e32 v1, 1, v1
	v_lshl_add_u32 v18, v0, 1, v21
	s_movk_i32 s33, 0x12c
	v_mov_b32_e32 v14, 0
	v_mov_b32_e32 v15, s41
	;; [unrolled: 1-line block ×3, first 2 shown]
	v_cmp_gt_u32_e64 s[4:5], 2, v0
	v_cmp_lt_u32_e64 s[2:3], 63, v0
	v_and_b32_e32 v20, 4, v2
	v_cmp_eq_u32_e64 s[6:7], 0, v1
	v_mad_u32_u24 v16, v0, 6, v18
	s_and_b64 vcc, exec, s[24:25]
	v_lshlrev_b32_e32 v22, 2, v0
	s_cbranch_vccnz .LBB37_20
; %bb.1:
	v_cmp_gt_u32_e64 s[34:35], s33, v0
	s_movk_i32 s33, 0xc8
	s_movk_i32 s24, 0x2bc
	;; [unrolled: 1-line block ×5, first 2 shown]
	v_cmp_gt_u32_e64 s[36:37], s33, v0
	s_movk_i32 s33, 0x64
	v_cmp_gt_u32_e64 s[24:25], s24, v0
	v_cmp_gt_u32_e64 s[26:27], s26, v0
	;; [unrolled: 1-line block ×5, first 2 shown]
	s_sub_i32 s41, s45, s44
	s_waitcnt vmcnt(0)
	v_mov_b32_e32 v1, v9
	v_mov_b32_e32 v2, v10
	;; [unrolled: 1-line block ×5, first 2 shown]
	s_branch .LBB37_3
.LBB37_2:                               ;   in Loop: Header=BB37_3 Depth=1
	s_andn2_b64 vcc, exec, s[46:47]
	s_mov_b32 s41, s43
	s_cbranch_vccz .LBB37_21
.LBB37_3:                               ; =>This Inner Loop Header: Depth=1
	v_mov_b32_e32 v29, v7
	v_mov_b32_e32 v26, v8
	;; [unrolled: 1-line block ×4, first 2 shown]
	s_and_saveexec_b64 s[46:47], s[22:23]
	s_cbranch_execz .LBB37_12
; %bb.4:                                ;   in Loop: Header=BB37_3 Depth=1
	ds_write_b32 v22, v14
	s_and_b64 exec, exec, s[24:25]
	s_cbranch_execz .LBB37_12
; %bb.5:                                ;   in Loop: Header=BB37_3 Depth=1
	ds_write_b32 v22, v14 offset:400
	s_and_b64 exec, exec, s[26:27]
	s_cbranch_execz .LBB37_12
; %bb.6:                                ;   in Loop: Header=BB37_3 Depth=1
	ds_write_b32 v22, v14 offset:800
	;; [unrolled: 4-line block ×5, first 2 shown]
	s_and_b64 exec, exec, s[36:37]
	s_cbranch_execz .LBB37_12
; %bb.10:                               ;   in Loop: Header=BB37_3 Depth=1
	ds_write_b32 v22, v14 offset:2400
	s_and_b64 exec, exec, s[38:39]
; %bb.11:                               ;   in Loop: Header=BB37_3 Depth=1
	ds_write_b32 v22, v14 offset:2800
.LBB37_12:                              ;   in Loop: Header=BB37_3 Depth=1
	s_or_b64 exec, exec, s[46:47]
	s_min_u32 s43, s41, 4
	s_lshl_b32 s43, -1, s43
	s_not_b32 s43, s43
	v_lshrrev_b32_sdwa v1, s44, v30 dst_sel:DWORD dst_unused:UNUSED_PAD src0_sel:DWORD src1_sel:WORD_0
	v_and_b32_e32 v1, s43, v1
	v_and_b32_e32 v2, 7, v1
	v_lshrrev_b32_e32 v1, 2, v1
	v_mad_u32_u24 v2, v2, s33, v0
	v_and_b32_e32 v1, 30, v1
	v_lshl_add_u32 v32, v2, 2, v1
	ds_read_u16 v35, v32
	v_lshrrev_b32_e32 v31, 16, v30
	s_waitcnt lgkmcnt(0)
	v_add_u16_e32 v1, 1, v35
	ds_write_b16 v32, v1
	v_lshrrev_b32_e32 v1, s44, v31
	v_and_b32_e32 v1, s43, v1
	v_and_b32_e32 v2, 7, v1
	v_lshrrev_b32_e32 v1, 2, v1
	v_mad_u32_u24 v2, v2, s33, v0
	v_and_b32_e32 v1, 30, v1
	v_lshl_add_u32 v33, v2, 2, v1
	ds_read_u16 v36, v33
	s_waitcnt lgkmcnt(0)
	v_add_u16_e32 v1, 1, v36
	ds_write_b16 v33, v1
	v_lshrrev_b32_sdwa v1, s44, v29 dst_sel:DWORD dst_unused:UNUSED_PAD src0_sel:DWORD src1_sel:WORD_0
	v_and_b32_e32 v1, s43, v1
	v_and_b32_e32 v2, 7, v1
	v_lshrrev_b32_e32 v1, 2, v1
	v_mad_u32_u24 v2, v2, s33, v0
	v_and_b32_e32 v1, 30, v1
	v_lshl_add_u32 v34, v2, 2, v1
	ds_read_u16 v37, v34
	s_waitcnt lgkmcnt(0)
	v_add_u16_e32 v1, 1, v37
	ds_write_b16 v34, v1
	s_waitcnt lgkmcnt(0)
	s_barrier
	ds_read2_b64 v[5:8], v17 offset1:1
	ds_read2_b64 v[1:4], v17 offset0:2 offset1:3
	s_waitcnt lgkmcnt(1)
	v_add_u32_e32 v38, v6, v5
	v_add3_u32 v38, v38, v7, v8
	s_waitcnt lgkmcnt(0)
	v_add3_u32 v38, v38, v1, v2
	v_add3_u32 v4, v38, v3, v4
	s_nop 1
	v_mov_b32_dpp v38, v4 row_shr:1 row_mask:0xf bank_mask:0xf
	v_cndmask_b32_e64 v38, v38, 0, s[20:21]
	v_add_u32_e32 v4, v38, v4
	s_nop 1
	v_mov_b32_dpp v38, v4 row_shr:2 row_mask:0xf bank_mask:0xf
	v_cndmask_b32_e64 v38, 0, v38, s[18:19]
	v_add_u32_e32 v4, v4, v38
	;; [unrolled: 4-line block ×4, first 2 shown]
	s_nop 1
	v_mov_b32_dpp v38, v4 row_bcast:15 row_mask:0xf bank_mask:0xf
	v_cndmask_b32_e64 v38, v38, 0, s[12:13]
	v_add_u32_e32 v4, v4, v38
	s_nop 1
	v_mov_b32_dpp v38, v4 row_bcast:31 row_mask:0xf bank_mask:0xf
	v_cndmask_b32_e64 v38, 0, v38, s[8:9]
	v_add_u32_e32 v38, v4, v38
	s_and_saveexec_b64 s[46:47], s[10:11]
; %bb.13:                               ;   in Loop: Header=BB37_3 Depth=1
	ds_write_b32 v20, v38 offset:3200
; %bb.14:                               ;   in Loop: Header=BB37_3 Depth=1
	s_or_b64 exec, exec, s[46:47]
	s_waitcnt lgkmcnt(0)
	s_barrier
	s_and_saveexec_b64 s[46:47], s[4:5]
	s_cbranch_execz .LBB37_16
; %bb.15:                               ;   in Loop: Header=BB37_3 Depth=1
	ds_read_b32 v4, v21 offset:3200
	s_waitcnt lgkmcnt(0)
	s_nop 0
	v_mov_b32_dpp v39, v4 row_shr:1 row_mask:0xf bank_mask:0xf
	v_cndmask_b32_e64 v39, v39, 0, s[6:7]
	v_add_u32_e32 v4, v39, v4
	ds_write_b32 v21, v4 offset:3200
.LBB37_16:                              ;   in Loop: Header=BB37_3 Depth=1
	s_or_b64 exec, exec, s[46:47]
	v_mov_b32_e32 v39, 0
	s_waitcnt lgkmcnt(0)
	s_barrier
	s_and_saveexec_b64 s[46:47], s[2:3]
; %bb.17:                               ;   in Loop: Header=BB37_3 Depth=1
	ds_read_b32 v39, v20 offset:3196
; %bb.18:                               ;   in Loop: Header=BB37_3 Depth=1
	s_or_b64 exec, exec, s[46:47]
	s_waitcnt lgkmcnt(0)
	v_add_u32_e32 v38, v39, v38
	ds_bpermute_b32 v38, v19, v38
	ds_read_b32 v40, v14 offset:3204
	v_and_b32_e32 v41, 0xffff, v35
	v_and_b32_e32 v42, 0xffff, v36
	v_and_b32_e32 v37, 0xffff, v37
	s_waitcnt lgkmcnt(1)
	v_cndmask_b32_e64 v35, v38, v39, s[0:1]
	s_waitcnt lgkmcnt(0)
	v_lshl_add_u32 v35, v40, 16, v35
	v_add_u32_e32 v36, v35, v5
	v_add_u32_e32 v5, v36, v6
	;; [unrolled: 1-line block ×7, first 2 shown]
	ds_write2_b64 v17, v[35:36], v[5:6] offset1:1
	ds_write2_b64 v17, v[7:8], v[1:2] offset0:2 offset1:3
	s_waitcnt lgkmcnt(0)
	s_barrier
	ds_read_u16 v1, v32
	ds_read_u16 v2, v33
	;; [unrolled: 1-line block ×3, first 2 shown]
	s_add_i32 s44, s44, 4
	v_mov_b32_e32 v4, v30
	s_cmp_ge_u32 s44, s45
	s_waitcnt lgkmcnt(2)
	v_add_lshl_u32 v6, v1, v41, 1
	s_waitcnt lgkmcnt(1)
	v_add_lshl_u32 v5, v2, v42, 1
	s_waitcnt lgkmcnt(0)
	v_add_lshl_u32 v3, v3, v37, 1
	s_mov_b64 s[46:47], -1
	v_readfirstlane_b32 s43, v0
                                        ; implicit-def: $vgpr7
                                        ; implicit-def: $vgpr8
                                        ; implicit-def: $vgpr2
	s_cbranch_scc1 .LBB37_2
; %bb.19:                               ;   in Loop: Header=BB37_3 Depth=1
	v_add_u32_e32 v1, v6, v6
	s_barrier
	ds_write_b16 v6, v30
	ds_write_b16 v5, v31
	;; [unrolled: 1-line block ×3, first 2 shown]
	s_waitcnt lgkmcnt(0)
	s_barrier
	ds_read_b32 v30, v18
	ds_read_u16 v7, v18 offset:4
	s_waitcnt lgkmcnt(0)
	s_barrier
	ds_write_b32 v1, v28
	v_add_u32_e32 v1, v5, v5
	ds_write_b32 v1, v27
	v_add_u32_e32 v1, v3, v3
	ds_write_b32 v1, v26
	s_waitcnt lgkmcnt(0)
	s_barrier
	ds_read2_b32 v[1:2], v16 offset1:1
	ds_read_b32 v8, v16 offset:8
	s_add_i32 s43, s41, -4
	s_mov_b64 s[46:47], 0
	s_waitcnt lgkmcnt(0)
	s_barrier
	s_branch .LBB37_2
.LBB37_20:
	s_mov_b64 s[24:25], -1
                                        ; implicit-def: $vgpr2
                                        ; implicit-def: $vgpr1
	s_branch .LBB37_22
.LBB37_21:
	s_barrier
	ds_write_b16 v6, v4
	ds_write_b16 v5, v31
	;; [unrolled: 1-line block ×3, first 2 shown]
	s_waitcnt lgkmcnt(0)
	s_barrier
	ds_read_b32 v1, v18
	ds_read_u16 v2, v18 offset:4
	v_add_u32_e32 v4, v6, v6
	s_waitcnt lgkmcnt(0)
	s_barrier
	ds_write_b32 v4, v28
	v_add_u32_e32 v4, v5, v5
	v_add_u32_e32 v3, v3, v3
	s_mov_b64 s[24:25], 0
	ds_write_b32 v4, v27
	ds_write_b32 v3, v26
	s_waitcnt lgkmcnt(0)
	s_barrier
.LBB37_22:
	v_add_co_u32_e32 v14, vcc, s40, v12
	v_addc_co_u32_e32 v15, vcc, 0, v15, vcc
	v_add_co_u32_e32 v12, vcc, s42, v13
	v_addc_co_u32_e32 v13, vcc, 0, v25, vcc
	s_and_b64 vcc, exec, s[24:25]
	s_cbranch_vccz .LBB37_84
; %bb.23:
	s_and_saveexec_b64 s[24:25], s[22:23]
	s_cbranch_execz .LBB37_32
; %bb.24:
	v_lshlrev_b32_e32 v1, 3, v0
	s_movk_i32 s26, 0x2bc
	v_mov_b32_e32 v2, 0
	v_sub_u32_e32 v3, v16, v1
	v_cmp_gt_u32_e32 vcc, s26, v0
	ds_write_b32 v3, v2
	s_and_b64 exec, exec, vcc
	s_cbranch_execz .LBB37_32
; %bb.25:
	v_sub_u32_e32 v1, 0, v1
	s_movk_i32 s26, 0x258
	v_add_u32_e32 v1, v16, v1
	v_cmp_gt_u32_e32 vcc, s26, v0
	ds_write_b32 v1, v2 offset:400
	s_and_b64 exec, exec, vcc
	s_cbranch_execz .LBB37_32
; %bb.26:
	s_movk_i32 s26, 0x1f4
	v_mov_b32_e32 v2, 0
	v_cmp_gt_u32_e32 vcc, s26, v0
	ds_write_b32 v1, v2 offset:800
	s_and_b64 exec, exec, vcc
	s_cbranch_execz .LBB37_32
; %bb.27:
	s_movk_i32 s26, 0x190
	v_cmp_gt_u32_e32 vcc, s26, v0
	ds_write_b32 v1, v2 offset:1200
	s_and_b64 exec, exec, vcc
	s_cbranch_execz .LBB37_32
; %bb.28:
	s_movk_i32 s26, 0x12c
	v_mov_b32_e32 v2, 0
	v_cmp_gt_u32_e32 vcc, s26, v0
	ds_write_b32 v1, v2 offset:1600
	s_and_b64 exec, exec, vcc
	s_cbranch_execz .LBB37_32
; %bb.29:
	s_movk_i32 s26, 0xc8
	v_cmp_gt_u32_e32 vcc, s26, v0
	ds_write_b32 v1, v2 offset:2000
	s_and_b64 exec, exec, vcc
	s_cbranch_execz .LBB37_32
; %bb.30:
	s_movk_i32 s26, 0x64
	v_mov_b32_e32 v2, 0
	v_cmp_gt_u32_e32 vcc, s26, v0
	ds_write_b32 v1, v2 offset:2400
	s_and_b64 exec, exec, vcc
; %bb.31:
	ds_write_b32 v1, v2 offset:2800
.LBB37_32:
	s_or_b64 exec, exec, s[24:25]
	s_waitcnt vmcnt(2)
	v_and_b32_e32 v1, 7, v24
	s_movk_i32 s24, 0x64
	v_lshrrev_b32_e32 v2, 2, v24
	v_mad_u32_u24 v1, v1, s24, v0
	v_and_b32_e32 v2, 2, v2
	v_lshl_or_b32 v25, v1, 2, v2
	ds_read_u16 v28, v25
	v_bfe_u32 v1, v24, 16, 3
	v_mad_u32_u24 v1, v1, s24, v0
	s_waitcnt lgkmcnt(0)
	v_add_u16_e32 v2, 1, v28
	ds_write_b16 v25, v2
	v_lshrrev_b32_e32 v2, 18, v24
	v_and_b32_e32 v2, 2, v2
	v_lshl_or_b32 v26, v1, 2, v2
	ds_read_u16 v29, v26
	v_mov_b32_e32 v2, 2
	s_waitcnt vmcnt(1)
	v_lshrrev_b32_sdwa v2, v2, v23 dst_sel:DWORD dst_unused:UNUSED_PAD src0_sel:DWORD src1_sel:WORD_0
	v_and_b32_e32 v2, 2, v2
	s_waitcnt lgkmcnt(0)
	v_add_u16_e32 v1, 1, v29
	ds_write_b16 v26, v1
	v_mov_b32_e32 v1, 7
	v_and_b32_sdwa v1, v23, v1 dst_sel:DWORD dst_unused:UNUSED_PAD src0_sel:WORD_0 src1_sel:DWORD
	v_mad_u32_u24 v1, v1, s24, v0
	v_lshl_or_b32 v27, v1, 2, v2
	ds_read_u16 v30, v27
	s_waitcnt lgkmcnt(0)
	v_add_u16_e32 v1, 1, v30
	ds_write_b16 v27, v1
	s_waitcnt vmcnt(0) lgkmcnt(0)
	s_barrier
	ds_read2_b64 v[5:8], v17 offset1:1
	ds_read2_b64 v[1:4], v17 offset0:2 offset1:3
	s_waitcnt lgkmcnt(1)
	v_add_u32_e32 v31, v6, v5
	v_add3_u32 v31, v31, v7, v8
	s_waitcnt lgkmcnt(0)
	v_add3_u32 v31, v31, v1, v2
	v_add3_u32 v4, v31, v3, v4
	s_nop 1
	v_mov_b32_dpp v31, v4 row_shr:1 row_mask:0xf bank_mask:0xf
	v_cndmask_b32_e64 v31, v31, 0, s[20:21]
	v_add_u32_e32 v4, v31, v4
	s_nop 1
	v_mov_b32_dpp v31, v4 row_shr:2 row_mask:0xf bank_mask:0xf
	v_cndmask_b32_e64 v31, 0, v31, s[18:19]
	v_add_u32_e32 v4, v4, v31
	;; [unrolled: 4-line block ×4, first 2 shown]
	s_nop 1
	v_mov_b32_dpp v31, v4 row_bcast:15 row_mask:0xf bank_mask:0xf
	v_cndmask_b32_e64 v31, v31, 0, s[12:13]
	v_add_u32_e32 v4, v4, v31
	s_nop 1
	v_mov_b32_dpp v31, v4 row_bcast:31 row_mask:0xf bank_mask:0xf
	v_cndmask_b32_e64 v31, 0, v31, s[8:9]
	v_add_u32_e32 v31, v4, v31
	s_and_saveexec_b64 s[24:25], s[10:11]
; %bb.33:
	ds_write_b32 v20, v31 offset:3200
; %bb.34:
	s_or_b64 exec, exec, s[24:25]
	s_waitcnt lgkmcnt(0)
	s_barrier
	s_and_saveexec_b64 s[24:25], s[4:5]
	s_cbranch_execz .LBB37_36
; %bb.35:
	ds_read_b32 v4, v21 offset:3200
	s_waitcnt lgkmcnt(0)
	s_nop 0
	v_mov_b32_dpp v32, v4 row_shr:1 row_mask:0xf bank_mask:0xf
	v_cndmask_b32_e64 v32, v32, 0, s[6:7]
	v_add_u32_e32 v4, v32, v4
	ds_write_b32 v21, v4 offset:3200
.LBB37_36:
	s_or_b64 exec, exec, s[24:25]
	v_lshrrev_b32_e32 v4, 16, v24
	v_mov_b32_e32 v33, 0
	v_mov_b32_e32 v32, 0
	s_waitcnt lgkmcnt(0)
	s_barrier
	s_and_saveexec_b64 s[24:25], s[2:3]
; %bb.37:
	ds_read_b32 v32, v20 offset:3196
; %bb.38:
	s_or_b64 exec, exec, s[24:25]
	s_waitcnt lgkmcnt(0)
	v_add_u32_e32 v31, v32, v31
	ds_bpermute_b32 v31, v19, v31
	ds_read_b32 v33, v33 offset:3204
	v_and_b32_e32 v34, 0xffff, v28
	v_and_b32_e32 v35, 0xffff, v29
	;; [unrolled: 1-line block ×3, first 2 shown]
	s_waitcnt lgkmcnt(1)
	v_cndmask_b32_e64 v28, v31, v32, s[0:1]
	s_waitcnt lgkmcnt(0)
	v_lshl_add_u32 v28, v33, 16, v28
	v_add_u32_e32 v29, v28, v5
	v_add_u32_e32 v5, v29, v6
	;; [unrolled: 1-line block ×7, first 2 shown]
	ds_write2_b64 v17, v[28:29], v[5:6] offset1:1
	ds_write2_b64 v17, v[7:8], v[1:2] offset0:2 offset1:3
	s_waitcnt lgkmcnt(0)
	s_barrier
	ds_read_u16 v1, v25
	ds_read_u16 v2, v26
	;; [unrolled: 1-line block ×3, first 2 shown]
	s_waitcnt lgkmcnt(0)
	s_barrier
	v_add_lshl_u32 v1, v1, v34, 1
	ds_write_b16 v1, v24
	v_add_lshl_u32 v2, v2, v35, 1
	v_add_lshl_u32 v3, v3, v30, 1
	v_add_u32_e32 v1, v1, v1
	ds_write_b16 v2, v4
	ds_write_b16 v3, v23
	s_waitcnt lgkmcnt(0)
	s_barrier
	ds_read_u16 v25, v18
	ds_read_u16 v24, v18 offset:2
	ds_read_u16 v23, v18 offset:4
	s_waitcnt lgkmcnt(0)
	s_barrier
	ds_write_b32 v1, v9
	v_add_u32_e32 v1, v2, v2
	ds_write_b32 v1, v10
	v_add_u32_e32 v1, v3, v3
	ds_write_b32 v1, v11
	s_waitcnt lgkmcnt(0)
	s_barrier
	ds_read2_b32 v[9:10], v16 offset1:1
	ds_read_b32 v11, v16 offset:8
	s_waitcnt lgkmcnt(0)
	s_barrier
	s_and_saveexec_b64 s[24:25], s[22:23]
	s_cbranch_execz .LBB37_47
; %bb.39:
	s_movk_i32 s26, 0x2bc
	v_mov_b32_e32 v1, 0
	v_cmp_gt_u32_e32 vcc, s26, v0
	ds_write_b32 v22, v1
	s_and_b64 exec, exec, vcc
	s_cbranch_execz .LBB37_47
; %bb.40:
	s_movk_i32 s26, 0x258
	v_cmp_gt_u32_e32 vcc, s26, v0
	ds_write_b32 v22, v1 offset:400
	s_and_b64 exec, exec, vcc
	s_cbranch_execz .LBB37_47
; %bb.41:
	s_movk_i32 s26, 0x1f4
	v_mov_b32_e32 v1, 0
	v_cmp_gt_u32_e32 vcc, s26, v0
	ds_write_b32 v22, v1 offset:800
	s_and_b64 exec, exec, vcc
	s_cbranch_execz .LBB37_47
; %bb.42:
	s_movk_i32 s26, 0x190
	v_cmp_gt_u32_e32 vcc, s26, v0
	ds_write_b32 v22, v1 offset:1200
	s_and_b64 exec, exec, vcc
	s_cbranch_execz .LBB37_47
; %bb.43:
	s_movk_i32 s26, 0x12c
	v_mov_b32_e32 v1, 0
	v_cmp_gt_u32_e32 vcc, s26, v0
	ds_write_b32 v22, v1 offset:1600
	;; [unrolled: 13-line block ×3, first 2 shown]
	s_and_b64 exec, exec, vcc
; %bb.46:
	ds_write_b32 v22, v1 offset:2800
.LBB37_47:
	s_or_b64 exec, exec, s[24:25]
	v_lshrrev_b16_e32 v1, 4, v25
	v_and_b32_e32 v2, 7, v1
	s_movk_i32 s24, 0x64
	v_lshrrev_b32_e32 v1, 2, v1
	v_mad_u32_u24 v2, v2, s24, v0
	v_and_b32_e32 v1, 2, v1
	v_lshl_or_b32 v26, v2, 2, v1
	ds_read_u16 v29, v26
	v_lshrrev_b16_e32 v1, 4, v24
	s_waitcnt lgkmcnt(0)
	v_add_u16_e32 v2, 1, v29
	ds_write_b16 v26, v2
	v_and_b32_e32 v2, 7, v1
	v_lshrrev_b32_e32 v1, 2, v1
	v_mad_u32_u24 v2, v2, s24, v0
	v_and_b32_e32 v1, 2, v1
	v_lshl_or_b32 v27, v2, 2, v1
	ds_read_u16 v30, v27
	s_waitcnt lgkmcnt(0)
	v_add_u16_e32 v1, 1, v30
	ds_write_b16 v27, v1
	v_lshrrev_b16_e32 v1, 4, v23
	v_and_b32_e32 v2, 7, v1
	v_lshrrev_b32_e32 v1, 2, v1
	v_mad_u32_u24 v2, v2, s24, v0
	v_and_b32_e32 v1, 2, v1
	v_lshl_or_b32 v28, v2, 2, v1
	ds_read_u16 v31, v28
	s_waitcnt lgkmcnt(0)
	v_add_u16_e32 v1, 1, v31
	ds_write_b16 v28, v1
	s_waitcnt lgkmcnt(0)
	s_barrier
	ds_read2_b64 v[5:8], v17 offset1:1
	ds_read2_b64 v[1:4], v17 offset0:2 offset1:3
	s_waitcnt lgkmcnt(1)
	v_add_u32_e32 v32, v6, v5
	v_add3_u32 v32, v32, v7, v8
	s_waitcnt lgkmcnt(0)
	v_add3_u32 v32, v32, v1, v2
	v_add3_u32 v4, v32, v3, v4
	s_nop 1
	v_mov_b32_dpp v32, v4 row_shr:1 row_mask:0xf bank_mask:0xf
	v_cndmask_b32_e64 v32, v32, 0, s[20:21]
	v_add_u32_e32 v4, v32, v4
	s_nop 1
	v_mov_b32_dpp v32, v4 row_shr:2 row_mask:0xf bank_mask:0xf
	v_cndmask_b32_e64 v32, 0, v32, s[18:19]
	v_add_u32_e32 v4, v4, v32
	;; [unrolled: 4-line block ×4, first 2 shown]
	s_nop 1
	v_mov_b32_dpp v32, v4 row_bcast:15 row_mask:0xf bank_mask:0xf
	v_cndmask_b32_e64 v32, v32, 0, s[12:13]
	v_add_u32_e32 v4, v4, v32
	s_nop 1
	v_mov_b32_dpp v32, v4 row_bcast:31 row_mask:0xf bank_mask:0xf
	v_cndmask_b32_e64 v32, 0, v32, s[8:9]
	v_add_u32_e32 v4, v4, v32
	s_and_saveexec_b64 s[24:25], s[10:11]
; %bb.48:
	ds_write_b32 v20, v4 offset:3200
; %bb.49:
	s_or_b64 exec, exec, s[24:25]
	s_waitcnt lgkmcnt(0)
	s_barrier
	s_and_saveexec_b64 s[24:25], s[4:5]
	s_cbranch_execz .LBB37_51
; %bb.50:
	ds_read_b32 v32, v21 offset:3200
	s_waitcnt lgkmcnt(0)
	s_nop 0
	v_mov_b32_dpp v33, v32 row_shr:1 row_mask:0xf bank_mask:0xf
	v_cndmask_b32_e64 v33, v33, 0, s[6:7]
	v_add_u32_e32 v32, v33, v32
	ds_write_b32 v21, v32 offset:3200
.LBB37_51:
	s_or_b64 exec, exec, s[24:25]
	v_mov_b32_e32 v33, 0
	v_mov_b32_e32 v32, 0
	s_waitcnt lgkmcnt(0)
	s_barrier
	s_and_saveexec_b64 s[24:25], s[2:3]
; %bb.52:
	ds_read_b32 v32, v20 offset:3196
; %bb.53:
	s_or_b64 exec, exec, s[24:25]
	s_waitcnt lgkmcnt(0)
	v_add_u32_e32 v4, v32, v4
	ds_bpermute_b32 v4, v19, v4
	ds_read_b32 v33, v33 offset:3204
	v_and_b32_e32 v34, 0xffff, v29
	v_and_b32_e32 v35, 0xffff, v30
	;; [unrolled: 1-line block ×3, first 2 shown]
	s_waitcnt lgkmcnt(1)
	v_cndmask_b32_e64 v4, v4, v32, s[0:1]
	s_waitcnt lgkmcnt(0)
	v_lshl_add_u32 v4, v33, 16, v4
	v_add_u32_e32 v5, v4, v5
	v_add_u32_e32 v6, v5, v6
	;; [unrolled: 1-line block ×7, first 2 shown]
	ds_write2_b64 v17, v[4:5], v[6:7] offset1:1
	ds_write2_b64 v17, v[29:30], v[1:2] offset0:2 offset1:3
	s_waitcnt lgkmcnt(0)
	s_barrier
	ds_read_u16 v1, v26
	ds_read_u16 v2, v27
	;; [unrolled: 1-line block ×3, first 2 shown]
	s_waitcnt lgkmcnt(0)
	s_barrier
	v_add_lshl_u32 v1, v1, v34, 1
	ds_write_b16 v1, v25
	v_add_lshl_u32 v2, v2, v35, 1
	v_add_lshl_u32 v3, v3, v31, 1
	v_add_u32_e32 v1, v1, v1
	ds_write_b16 v2, v24
	ds_write_b16 v3, v23
	s_waitcnt lgkmcnt(0)
	s_barrier
	ds_read_u16 v26, v18
	ds_read_u16 v24, v18 offset:2
	ds_read_u16 v23, v18 offset:4
	s_waitcnt lgkmcnt(0)
	s_barrier
	ds_write_b32 v1, v9
	v_add_u32_e32 v1, v2, v2
	ds_write_b32 v1, v10
	v_add_u32_e32 v1, v3, v3
	ds_write_b32 v1, v11
	s_waitcnt lgkmcnt(0)
	s_barrier
	ds_read2_b32 v[9:10], v16 offset1:1
	ds_read_b32 v25, v16 offset:8
	s_waitcnt lgkmcnt(0)
	s_barrier
	s_and_saveexec_b64 s[24:25], s[22:23]
	s_cbranch_execz .LBB37_62
; %bb.54:
	s_movk_i32 s26, 0x2bc
	v_mov_b32_e32 v1, 0
	v_cmp_gt_u32_e32 vcc, s26, v0
	ds_write_b32 v22, v1
	s_and_b64 exec, exec, vcc
	s_cbranch_execz .LBB37_62
; %bb.55:
	s_movk_i32 s26, 0x258
	v_cmp_gt_u32_e32 vcc, s26, v0
	ds_write_b32 v22, v1 offset:400
	s_and_b64 exec, exec, vcc
	s_cbranch_execz .LBB37_62
; %bb.56:
	s_movk_i32 s26, 0x1f4
	v_mov_b32_e32 v1, 0
	v_cmp_gt_u32_e32 vcc, s26, v0
	ds_write_b32 v22, v1 offset:800
	s_and_b64 exec, exec, vcc
	s_cbranch_execz .LBB37_62
; %bb.57:
	s_movk_i32 s26, 0x190
	v_cmp_gt_u32_e32 vcc, s26, v0
	ds_write_b32 v22, v1 offset:1200
	s_and_b64 exec, exec, vcc
	s_cbranch_execz .LBB37_62
; %bb.58:
	s_movk_i32 s26, 0x12c
	v_mov_b32_e32 v1, 0
	v_cmp_gt_u32_e32 vcc, s26, v0
	ds_write_b32 v22, v1 offset:1600
	;; [unrolled: 13-line block ×3, first 2 shown]
	s_and_b64 exec, exec, vcc
; %bb.61:
	ds_write_b32 v22, v1 offset:2800
.LBB37_62:
	s_or_b64 exec, exec, s[24:25]
	v_mov_b32_e32 v1, 7
	v_mov_b32_e32 v3, 2
	v_and_b32_sdwa v2, v26, v1 dst_sel:DWORD dst_unused:UNUSED_PAD src0_sel:BYTE_1 src1_sel:DWORD
	s_movk_i32 s24, 0x64
	v_lshrrev_b32_sdwa v4, v3, v26 dst_sel:DWORD dst_unused:UNUSED_PAD src0_sel:DWORD src1_sel:BYTE_1
	v_mad_u32_u24 v2, v2, s24, v0
	v_and_b32_e32 v4, 2, v4
	v_lshl_or_b32 v11, v2, 2, v4
	ds_read_u16 v29, v11
	v_lshrrev_b32_sdwa v4, v3, v24 dst_sel:DWORD dst_unused:UNUSED_PAD src0_sel:DWORD src1_sel:BYTE_1
	v_and_b32_e32 v4, 2, v4
	s_waitcnt lgkmcnt(0)
	v_add_u16_e32 v2, 1, v29
	ds_write_b16 v11, v2
	v_and_b32_sdwa v2, v24, v1 dst_sel:DWORD dst_unused:UNUSED_PAD src0_sel:BYTE_1 src1_sel:DWORD
	v_mad_u32_u24 v2, v2, s24, v0
	v_lshl_or_b32 v27, v2, 2, v4
	ds_read_u16 v30, v27
	v_and_b32_sdwa v1, v23, v1 dst_sel:DWORD dst_unused:UNUSED_PAD src0_sel:BYTE_1 src1_sel:DWORD
	v_mad_u32_u24 v1, v1, s24, v0
	s_waitcnt lgkmcnt(0)
	v_add_u16_e32 v2, 1, v30
	ds_write_b16 v27, v2
	v_lshrrev_b32_sdwa v2, v3, v23 dst_sel:DWORD dst_unused:UNUSED_PAD src0_sel:DWORD src1_sel:BYTE_1
	v_and_b32_e32 v2, 2, v2
	v_lshl_or_b32 v28, v1, 2, v2
	ds_read_u16 v31, v28
	s_waitcnt lgkmcnt(0)
	v_add_u16_e32 v1, 1, v31
	ds_write_b16 v28, v1
	s_waitcnt lgkmcnt(0)
	s_barrier
	ds_read2_b64 v[5:8], v17 offset1:1
	ds_read2_b64 v[1:4], v17 offset0:2 offset1:3
	s_waitcnt lgkmcnt(1)
	v_add_u32_e32 v32, v6, v5
	v_add3_u32 v32, v32, v7, v8
	s_waitcnt lgkmcnt(0)
	v_add3_u32 v32, v32, v1, v2
	v_add3_u32 v4, v32, v3, v4
	s_nop 1
	v_mov_b32_dpp v32, v4 row_shr:1 row_mask:0xf bank_mask:0xf
	v_cndmask_b32_e64 v32, v32, 0, s[20:21]
	v_add_u32_e32 v4, v32, v4
	s_nop 1
	v_mov_b32_dpp v32, v4 row_shr:2 row_mask:0xf bank_mask:0xf
	v_cndmask_b32_e64 v32, 0, v32, s[18:19]
	v_add_u32_e32 v4, v4, v32
	;; [unrolled: 4-line block ×4, first 2 shown]
	s_nop 1
	v_mov_b32_dpp v32, v4 row_bcast:15 row_mask:0xf bank_mask:0xf
	v_cndmask_b32_e64 v32, v32, 0, s[12:13]
	v_add_u32_e32 v4, v4, v32
	s_nop 1
	v_mov_b32_dpp v32, v4 row_bcast:31 row_mask:0xf bank_mask:0xf
	v_cndmask_b32_e64 v32, 0, v32, s[8:9]
	v_add_u32_e32 v4, v4, v32
	s_and_saveexec_b64 s[24:25], s[10:11]
; %bb.63:
	ds_write_b32 v20, v4 offset:3200
; %bb.64:
	s_or_b64 exec, exec, s[24:25]
	s_waitcnt lgkmcnt(0)
	s_barrier
	s_and_saveexec_b64 s[24:25], s[4:5]
	s_cbranch_execz .LBB37_66
; %bb.65:
	ds_read_b32 v32, v21 offset:3200
	s_waitcnt lgkmcnt(0)
	s_nop 0
	v_mov_b32_dpp v33, v32 row_shr:1 row_mask:0xf bank_mask:0xf
	v_cndmask_b32_e64 v33, v33, 0, s[6:7]
	v_add_u32_e32 v32, v33, v32
	ds_write_b32 v21, v32 offset:3200
.LBB37_66:
	s_or_b64 exec, exec, s[24:25]
	v_mov_b32_e32 v33, 0
	v_mov_b32_e32 v32, 0
	s_waitcnt lgkmcnt(0)
	s_barrier
	s_and_saveexec_b64 s[24:25], s[2:3]
; %bb.67:
	ds_read_b32 v32, v20 offset:3196
; %bb.68:
	s_or_b64 exec, exec, s[24:25]
	s_waitcnt lgkmcnt(0)
	v_add_u32_e32 v4, v32, v4
	ds_bpermute_b32 v4, v19, v4
	ds_read_b32 v33, v33 offset:3204
	v_and_b32_e32 v34, 0xffff, v29
	v_and_b32_e32 v35, 0xffff, v30
	v_and_b32_e32 v31, 0xffff, v31
	s_waitcnt lgkmcnt(1)
	v_cndmask_b32_e64 v4, v4, v32, s[0:1]
	s_waitcnt lgkmcnt(0)
	v_lshl_add_u32 v4, v33, 16, v4
	v_add_u32_e32 v5, v4, v5
	v_add_u32_e32 v6, v5, v6
	v_add_u32_e32 v7, v6, v7
	v_add_u32_e32 v29, v7, v8
	v_add_u32_e32 v30, v29, v1
	v_add_u32_e32 v1, v30, v2
	v_add_u32_e32 v2, v1, v3
	ds_write2_b64 v17, v[4:5], v[6:7] offset1:1
	ds_write2_b64 v17, v[29:30], v[1:2] offset0:2 offset1:3
	s_waitcnt lgkmcnt(0)
	s_barrier
	ds_read_u16 v1, v11
	ds_read_u16 v2, v27
	;; [unrolled: 1-line block ×3, first 2 shown]
	s_waitcnt lgkmcnt(0)
	s_barrier
	v_add_lshl_u32 v1, v1, v34, 1
	ds_write_b16 v1, v26
	v_add_lshl_u32 v2, v2, v35, 1
	v_add_lshl_u32 v3, v3, v31, 1
	v_add_u32_e32 v1, v1, v1
	ds_write_b16 v2, v24
	ds_write_b16 v3, v23
	s_waitcnt lgkmcnt(0)
	s_barrier
	ds_read_u16 v24, v18
	ds_read_u16 v23, v18 offset:2
	ds_read_u16 v11, v18 offset:4
	s_waitcnt lgkmcnt(0)
	s_barrier
	ds_write_b32 v1, v9
	v_add_u32_e32 v1, v2, v2
	ds_write_b32 v1, v10
	v_add_u32_e32 v1, v3, v3
	ds_write_b32 v1, v25
	s_waitcnt lgkmcnt(0)
	s_barrier
	ds_read2_b32 v[8:9], v16 offset1:1
	ds_read_b32 v10, v16 offset:8
	s_waitcnt lgkmcnt(0)
	s_barrier
	s_and_saveexec_b64 s[24:25], s[22:23]
	s_cbranch_execz .LBB37_77
; %bb.69:
	s_movk_i32 s22, 0x2bc
	v_mov_b32_e32 v1, 0
	v_cmp_gt_u32_e32 vcc, s22, v0
	ds_write_b32 v22, v1
	s_and_b64 exec, exec, vcc
	s_cbranch_execz .LBB37_77
; %bb.70:
	s_movk_i32 s22, 0x258
	v_cmp_gt_u32_e32 vcc, s22, v0
	ds_write_b32 v22, v1 offset:400
	s_and_b64 exec, exec, vcc
	s_cbranch_execz .LBB37_77
; %bb.71:
	s_movk_i32 s22, 0x1f4
	v_mov_b32_e32 v1, 0
	v_cmp_gt_u32_e32 vcc, s22, v0
	ds_write_b32 v22, v1 offset:800
	s_and_b64 exec, exec, vcc
	s_cbranch_execz .LBB37_77
; %bb.72:
	s_movk_i32 s22, 0x190
	v_cmp_gt_u32_e32 vcc, s22, v0
	ds_write_b32 v22, v1 offset:1200
	s_and_b64 exec, exec, vcc
	s_cbranch_execz .LBB37_77
; %bb.73:
	s_movk_i32 s22, 0x12c
	v_mov_b32_e32 v1, 0
	v_cmp_gt_u32_e32 vcc, s22, v0
	ds_write_b32 v22, v1 offset:1600
	;; [unrolled: 13-line block ×3, first 2 shown]
	s_and_b64 exec, exec, vcc
; %bb.76:
	ds_write_b32 v22, v1 offset:2800
.LBB37_77:
	s_or_b64 exec, exec, s[24:25]
	v_lshrrev_b16_e32 v1, 12, v24
	v_and_b32_e32 v2, 7, v1
	s_movk_i32 s22, 0x64
	v_lshrrev_b32_e32 v1, 2, v1
	v_mad_u32_u24 v2, v2, s22, v0
	v_and_b32_e32 v1, 2, v1
	v_lshl_or_b32 v22, v2, 2, v1
	ds_read_u16 v28, v22
	v_lshrrev_b16_e32 v1, 12, v23
	s_waitcnt lgkmcnt(0)
	v_add_u16_e32 v2, 1, v28
	ds_write_b16 v22, v2
	v_and_b32_e32 v2, 7, v1
	v_lshrrev_b32_e32 v1, 2, v1
	v_mad_u32_u24 v2, v2, s22, v0
	v_and_b32_e32 v1, 2, v1
	v_lshl_or_b32 v25, v2, 2, v1
	ds_read_u16 v29, v25
	s_waitcnt lgkmcnt(0)
	v_add_u16_e32 v1, 1, v29
	ds_write_b16 v25, v1
	v_lshrrev_b16_e32 v1, 12, v11
	v_and_b32_e32 v2, 7, v1
	v_lshrrev_b32_e32 v1, 2, v1
	v_mad_u32_u24 v0, v2, s22, v0
	v_and_b32_e32 v1, 2, v1
	v_lshl_or_b32 v27, v0, 2, v1
	ds_read_u16 v26, v27
	s_waitcnt lgkmcnt(0)
	v_add_u16_e32 v0, 1, v26
	ds_write_b16 v27, v0
	s_waitcnt lgkmcnt(0)
	s_barrier
	ds_read2_b64 v[4:7], v17 offset1:1
	ds_read2_b64 v[0:3], v17 offset0:2 offset1:3
	s_waitcnt lgkmcnt(1)
	v_add_u32_e32 v30, v5, v4
	v_add3_u32 v30, v30, v6, v7
	s_waitcnt lgkmcnt(0)
	v_add3_u32 v30, v30, v0, v1
	v_add3_u32 v3, v30, v2, v3
	s_nop 1
	v_mov_b32_dpp v30, v3 row_shr:1 row_mask:0xf bank_mask:0xf
	v_cndmask_b32_e64 v30, v30, 0, s[20:21]
	v_add_u32_e32 v3, v30, v3
	s_nop 1
	v_mov_b32_dpp v30, v3 row_shr:2 row_mask:0xf bank_mask:0xf
	v_cndmask_b32_e64 v30, 0, v30, s[18:19]
	v_add_u32_e32 v3, v3, v30
	;; [unrolled: 4-line block ×4, first 2 shown]
	s_nop 1
	v_mov_b32_dpp v30, v3 row_bcast:15 row_mask:0xf bank_mask:0xf
	v_cndmask_b32_e64 v30, v30, 0, s[12:13]
	v_add_u32_e32 v3, v3, v30
	s_nop 1
	v_mov_b32_dpp v30, v3 row_bcast:31 row_mask:0xf bank_mask:0xf
	v_cndmask_b32_e64 v30, 0, v30, s[8:9]
	v_add_u32_e32 v3, v3, v30
	s_and_saveexec_b64 s[8:9], s[10:11]
; %bb.78:
	ds_write_b32 v20, v3 offset:3200
; %bb.79:
	s_or_b64 exec, exec, s[8:9]
	s_waitcnt lgkmcnt(0)
	s_barrier
	s_and_saveexec_b64 s[8:9], s[4:5]
	s_cbranch_execz .LBB37_81
; %bb.80:
	ds_read_b32 v30, v21 offset:3200
	s_waitcnt lgkmcnt(0)
	s_nop 0
	v_mov_b32_dpp v31, v30 row_shr:1 row_mask:0xf bank_mask:0xf
	v_cndmask_b32_e64 v31, v31, 0, s[6:7]
	v_add_u32_e32 v30, v31, v30
	ds_write_b32 v21, v30 offset:3200
.LBB37_81:
	s_or_b64 exec, exec, s[8:9]
	v_mov_b32_e32 v30, 0
	v_mov_b32_e32 v21, 0
	s_waitcnt lgkmcnt(0)
	s_barrier
	s_and_saveexec_b64 s[4:5], s[2:3]
; %bb.82:
	ds_read_b32 v21, v20 offset:3196
; %bb.83:
	s_or_b64 exec, exec, s[4:5]
	s_waitcnt lgkmcnt(0)
	v_add_u32_e32 v3, v21, v3
	ds_bpermute_b32 v3, v19, v3
	ds_read_b32 v19, v30 offset:3204
	v_and_b32_e32 v28, 0xffff, v28
	v_and_b32_e32 v29, 0xffff, v29
	s_waitcnt lgkmcnt(1)
	v_cndmask_b32_e64 v3, v3, v21, s[0:1]
	s_waitcnt lgkmcnt(0)
	v_lshl_add_u32 v3, v19, 16, v3
	v_add_u32_e32 v4, v3, v4
	v_add_u32_e32 v5, v4, v5
	;; [unrolled: 1-line block ×7, first 2 shown]
	ds_write2_b64 v17, v[3:4], v[5:6] offset1:1
	ds_write2_b64 v17, v[19:20], v[0:1] offset0:2 offset1:3
	s_waitcnt lgkmcnt(0)
	s_barrier
	ds_read_u16 v0, v27
	ds_read_u16 v1, v25
	;; [unrolled: 1-line block ×3, first 2 shown]
	v_and_b32_e32 v3, 0xffff, v26
	s_waitcnt lgkmcnt(0)
	v_add_lshl_u32 v0, v0, v3, 1
	v_add_lshl_u32 v5, v1, v29, 1
	;; [unrolled: 1-line block ×3, first 2 shown]
	s_barrier
	ds_write_b16 v4, v24
	ds_write_b16 v5, v23
	;; [unrolled: 1-line block ×3, first 2 shown]
	s_waitcnt lgkmcnt(0)
	s_barrier
	ds_read_b32 v1, v18
	ds_read_u16 v2, v18 offset:4
	v_add_u32_e32 v3, v4, v4
	s_waitcnt lgkmcnt(0)
	s_barrier
	ds_write_b32 v3, v8
	v_add_u32_e32 v3, v5, v5
	v_add_u32_e32 v0, v0, v0
	ds_write_b32 v3, v9
	ds_write_b32 v0, v10
	s_waitcnt lgkmcnt(0)
	s_barrier
.LBB37_84:
	ds_read2_b32 v[3:4], v16 offset1:1
	ds_read_b32 v5, v16 offset:8
	global_store_short v[14:15], v2, off offset:4
	global_store_dword v[14:15], v1, off
	s_waitcnt lgkmcnt(0)
	global_store_dwordx3 v[12:13], v[3:5], off
	s_endpgm
	.section	.rodata,"a",@progbits
	.p2align	6, 0x0
	.amdhsa_kernel _Z21sort_key_value_kernelILj100ELj3ELb0ELb0EtiEvPT3_PT4_jj
		.amdhsa_group_segment_fixed_size 3216
		.amdhsa_private_segment_fixed_size 0
		.amdhsa_kernarg_size 24
		.amdhsa_user_sgpr_count 6
		.amdhsa_user_sgpr_private_segment_buffer 1
		.amdhsa_user_sgpr_dispatch_ptr 0
		.amdhsa_user_sgpr_queue_ptr 0
		.amdhsa_user_sgpr_kernarg_segment_ptr 1
		.amdhsa_user_sgpr_dispatch_id 0
		.amdhsa_user_sgpr_flat_scratch_init 0
		.amdhsa_user_sgpr_private_segment_size 0
		.amdhsa_uses_dynamic_stack 0
		.amdhsa_system_sgpr_private_segment_wavefront_offset 0
		.amdhsa_system_sgpr_workgroup_id_x 1
		.amdhsa_system_sgpr_workgroup_id_y 0
		.amdhsa_system_sgpr_workgroup_id_z 0
		.amdhsa_system_sgpr_workgroup_info 0
		.amdhsa_system_vgpr_workitem_id 0
		.amdhsa_next_free_vgpr 43
		.amdhsa_next_free_sgpr 61
		.amdhsa_reserve_vcc 1
		.amdhsa_reserve_flat_scratch 0
		.amdhsa_float_round_mode_32 0
		.amdhsa_float_round_mode_16_64 0
		.amdhsa_float_denorm_mode_32 3
		.amdhsa_float_denorm_mode_16_64 3
		.amdhsa_dx10_clamp 1
		.amdhsa_ieee_mode 1
		.amdhsa_fp16_overflow 0
		.amdhsa_exception_fp_ieee_invalid_op 0
		.amdhsa_exception_fp_denorm_src 0
		.amdhsa_exception_fp_ieee_div_zero 0
		.amdhsa_exception_fp_ieee_overflow 0
		.amdhsa_exception_fp_ieee_underflow 0
		.amdhsa_exception_fp_ieee_inexact 0
		.amdhsa_exception_int_div_zero 0
	.end_amdhsa_kernel
	.section	.text._Z21sort_key_value_kernelILj100ELj3ELb0ELb0EtiEvPT3_PT4_jj,"axG",@progbits,_Z21sort_key_value_kernelILj100ELj3ELb0ELb0EtiEvPT3_PT4_jj,comdat
.Lfunc_end37:
	.size	_Z21sort_key_value_kernelILj100ELj3ELb0ELb0EtiEvPT3_PT4_jj, .Lfunc_end37-_Z21sort_key_value_kernelILj100ELj3ELb0ELb0EtiEvPT3_PT4_jj
                                        ; -- End function
	.set _Z21sort_key_value_kernelILj100ELj3ELb0ELb0EtiEvPT3_PT4_jj.num_vgpr, 43
	.set _Z21sort_key_value_kernelILj100ELj3ELb0ELb0EtiEvPT3_PT4_jj.num_agpr, 0
	.set _Z21sort_key_value_kernelILj100ELj3ELb0ELb0EtiEvPT3_PT4_jj.numbered_sgpr, 48
	.set _Z21sort_key_value_kernelILj100ELj3ELb0ELb0EtiEvPT3_PT4_jj.num_named_barrier, 0
	.set _Z21sort_key_value_kernelILj100ELj3ELb0ELb0EtiEvPT3_PT4_jj.private_seg_size, 0
	.set _Z21sort_key_value_kernelILj100ELj3ELb0ELb0EtiEvPT3_PT4_jj.uses_vcc, 1
	.set _Z21sort_key_value_kernelILj100ELj3ELb0ELb0EtiEvPT3_PT4_jj.uses_flat_scratch, 0
	.set _Z21sort_key_value_kernelILj100ELj3ELb0ELb0EtiEvPT3_PT4_jj.has_dyn_sized_stack, 0
	.set _Z21sort_key_value_kernelILj100ELj3ELb0ELb0EtiEvPT3_PT4_jj.has_recursion, 0
	.set _Z21sort_key_value_kernelILj100ELj3ELb0ELb0EtiEvPT3_PT4_jj.has_indirect_call, 0
	.section	.AMDGPU.csdata,"",@progbits
; Kernel info:
; codeLenInByte = 5680
; TotalNumSgprs: 52
; NumVgprs: 43
; ScratchSize: 0
; MemoryBound: 0
; FloatMode: 240
; IeeeMode: 1
; LDSByteSize: 3216 bytes/workgroup (compile time only)
; SGPRBlocks: 8
; VGPRBlocks: 10
; NumSGPRsForWavesPerEU: 65
; NumVGPRsForWavesPerEU: 43
; Occupancy: 5
; WaveLimiterHint : 0
; COMPUTE_PGM_RSRC2:SCRATCH_EN: 0
; COMPUTE_PGM_RSRC2:USER_SGPR: 6
; COMPUTE_PGM_RSRC2:TRAP_HANDLER: 0
; COMPUTE_PGM_RSRC2:TGID_X_EN: 1
; COMPUTE_PGM_RSRC2:TGID_Y_EN: 0
; COMPUTE_PGM_RSRC2:TGID_Z_EN: 0
; COMPUTE_PGM_RSRC2:TIDIG_COMP_CNT: 0
	.section	.text._Z21sort_key_value_kernelILj464ELj2ELb1ELb1EcdEvPT3_PT4_jj,"axG",@progbits,_Z21sort_key_value_kernelILj464ELj2ELb1ELb1EcdEvPT3_PT4_jj,comdat
	.protected	_Z21sort_key_value_kernelILj464ELj2ELb1ELb1EcdEvPT3_PT4_jj ; -- Begin function _Z21sort_key_value_kernelILj464ELj2ELb1ELb1EcdEvPT3_PT4_jj
	.globl	_Z21sort_key_value_kernelILj464ELj2ELb1ELb1EcdEvPT3_PT4_jj
	.p2align	8
	.type	_Z21sort_key_value_kernelILj464ELj2ELb1ELb1EcdEvPT3_PT4_jj,@function
_Z21sort_key_value_kernelILj464ELj2ELb1ELb1EcdEvPT3_PT4_jj: ; @_Z21sort_key_value_kernelILj464ELj2ELb1ELb1EcdEvPT3_PT4_jj
; %bb.0:
	s_load_dwordx4 s[0:3], s[4:5], 0x0
	s_load_dwordx2 s[36:37], s[4:5], 0x10
	s_mul_i32 s4, s6, 0x3a0
	v_lshlrev_b32_e32 v19, 1, v0
	s_mov_b32 s5, 0
	s_waitcnt lgkmcnt(0)
	s_add_u32 s30, s0, s4
	s_addc_u32 s31, s1, 0
	global_load_ushort v5, v19, s[30:31]
	s_lshl_b64 s[0:1], s[4:5], 3
	s_add_u32 s34, s2, s0
	v_lshlrev_b32_e32 v1, 4, v0
	s_addc_u32 s35, s3, s1
	global_load_dwordx4 v[1:4], v1, s[34:35]
	s_cmp_lg_u32 s36, 0
	s_cselect_b64 s[4:5], -1, 0
	s_cmp_lg_u32 s37, 8
	s_cselect_b64 s[6:7], -1, 0
	s_or_b64 s[4:5], s[4:5], s[6:7]
	s_movk_i32 s26, 0x3a0
	v_mbcnt_lo_u32_b32 v23, -1, 0
	v_lshlrev_b32_e32 v17, 5, v0
	v_cmp_gt_u32_e64 s[0:1], 8, v0
	v_cmp_lt_u32_e64 s[2:3], 63, v0
	v_lshrrev_b32_e32 v22, 4, v0
	v_lshlrev_b32_e32 v18, 2, v0
	v_lshrrev_b32_e32 v20, 1, v0
	s_and_b64 vcc, exec, s[4:5]
	s_waitcnt vmcnt(1)
	v_and_b32_e32 v6, 0xffffff00, v5
	v_xor_b32_e32 v5, 0x7f, v5
	v_xor_b32_e32 v6, 0x7f00, v6
	v_or_b32_sdwa v5, v5, v6 dst_sel:DWORD dst_unused:UNUSED_PAD src0_sel:BYTE_0 src1_sel:DWORD
	v_and_b32_e32 v21, 0xffff, v5
	s_cbranch_vccz .LBB38_14
; %bb.1:
	v_mbcnt_hi_u32_b32 v5, -1, v23
	v_and_b32_e32 v6, 15, v5
	v_cmp_eq_u32_e64 s[4:5], 0, v6
	v_cmp_lt_u32_e64 s[6:7], 1, v6
	v_cmp_lt_u32_e64 s[8:9], 3, v6
	;; [unrolled: 1-line block ×3, first 2 shown]
	v_and_b32_e32 v6, 16, v5
	v_cmp_eq_u32_e64 s[12:13], 0, v6
	v_and_b32_e32 v6, 0x1c0, v0
	v_min_u32_e32 v6, 0x190, v6
	v_add_u32_e32 v6, 63, v6
	v_cmp_eq_u32_e64 s[16:17], v0, v6
	v_subrev_co_u32_e64 v6, s[18:19], 1, v5
	v_and_b32_e32 v7, 64, v5
	v_cmp_lt_i32_e32 vcc, v6, v7
	v_cmp_lt_u32_e64 s[14:15], 31, v5
	v_cndmask_b32_e32 v6, v6, v5, vcc
	v_and_b32_e32 v5, 7, v5
	v_cmp_eq_u32_e64 s[20:21], 0, v5
	v_cmp_lt_u32_e64 s[22:23], 1, v5
	v_cmp_lt_u32_e64 s[24:25], 3, v5
	v_and_b32_e32 v5, 0xf8, v20
	v_lshlrev_b32_e32 v24, 2, v6
	v_sub_u32_e32 v26, v18, v19
	v_lshl_add_u32 v27, v19, 3, v5
	s_movk_i32 s33, 0x1d0
	s_waitcnt vmcnt(0)
	v_mov_b32_e32 v6, v2
	v_mov_b32_e32 v8, v4
	v_and_b32_e32 v25, 28, v22
	v_cmp_gt_u32_e64 s[26:27], s26, v0
	v_cmp_gt_u32_e64 s[28:29], s33, v0
	s_sub_i32 s40, s37, s36
	v_add_u32_e32 v28, v26, v19
	v_mov_b32_e32 v29, 0
	v_mov_b32_e32 v30, v21
	;; [unrolled: 1-line block ×4, first 2 shown]
	s_branch .LBB38_3
.LBB38_2:                               ;   in Loop: Header=BB38_3 Depth=1
	s_andn2_b64 vcc, exec, s[38:39]
	s_mov_b32 s40, s41
	s_cbranch_vccz .LBB38_15
.LBB38_3:                               ; =>This Inner Loop Header: Depth=1
	v_mov_b32_e32 v14, v8
	v_mov_b32_e32 v16, v6
	;; [unrolled: 1-line block ×4, first 2 shown]
	ds_write_b32 v28, v29
	ds_write_b32 v28, v29 offset:1856
	ds_write_b32 v28, v29 offset:3712
	;; [unrolled: 1-line block ×5, first 2 shown]
	s_and_saveexec_b64 s[38:39], s[26:27]
	s_cbranch_execz .LBB38_6
; %bb.4:                                ;   in Loop: Header=BB38_3 Depth=1
	ds_write_b32 v28, v29 offset:11136
	s_and_b64 exec, exec, s[28:29]
; %bb.5:                                ;   in Loop: Header=BB38_3 Depth=1
	ds_write_b32 v28, v29 offset:12992
.LBB38_6:                               ;   in Loop: Header=BB38_3 Depth=1
	s_or_b64 exec, exec, s[38:39]
	s_min_u32 s38, s40, 4
	s_lshl_b32 s38, -1, s38
	s_not_b32 s38, s38
	v_lshrrev_b32_sdwa v5, s36, v30 dst_sel:DWORD dst_unused:UNUSED_PAD src0_sel:DWORD src1_sel:BYTE_0
	v_and_b32_e32 v5, s38, v5
	v_and_b32_e32 v6, 7, v5
	v_lshrrev_b32_e32 v5, 2, v5
	v_mad_u32_u24 v6, v6, s33, v0
	v_and_b32_e32 v5, 30, v5
	v_lshl_add_u32 v33, v6, 2, v5
	ds_read_u16 v32, v33
	v_lshrrev_b16_e32 v31, 8, v30
	s_waitcnt lgkmcnt(0)
	v_add_u16_e32 v5, 1, v32
	ds_write_b16 v33, v5
	v_lshrrev_b32_e32 v5, s36, v31
	v_and_b32_e32 v5, s38, v5
	v_and_b32_e32 v6, 7, v5
	v_lshrrev_b32_e32 v5, 2, v5
	v_mad_u32_u24 v6, v6, s33, v0
	v_and_b32_e32 v5, 30, v5
	v_lshl_add_u32 v35, v6, 2, v5
	ds_read_u16 v34, v35
	s_waitcnt lgkmcnt(0)
	v_add_u16_e32 v5, 1, v34
	ds_write_b16 v35, v5
	s_waitcnt lgkmcnt(0)
	s_barrier
	ds_read2_b64 v[9:12], v17 offset1:1
	ds_read2_b64 v[5:8], v17 offset0:2 offset1:3
	s_waitcnt lgkmcnt(1)
	v_add_u32_e32 v36, v10, v9
	v_add3_u32 v36, v36, v11, v12
	s_waitcnt lgkmcnt(0)
	v_add3_u32 v36, v36, v5, v6
	v_add3_u32 v8, v36, v7, v8
	s_nop 1
	v_mov_b32_dpp v36, v8 row_shr:1 row_mask:0xf bank_mask:0xf
	v_cndmask_b32_e64 v36, v36, 0, s[4:5]
	v_add_u32_e32 v8, v36, v8
	s_nop 1
	v_mov_b32_dpp v36, v8 row_shr:2 row_mask:0xf bank_mask:0xf
	v_cndmask_b32_e64 v36, 0, v36, s[6:7]
	v_add_u32_e32 v8, v8, v36
	;; [unrolled: 4-line block ×4, first 2 shown]
	s_nop 1
	v_mov_b32_dpp v36, v8 row_bcast:15 row_mask:0xf bank_mask:0xf
	v_cndmask_b32_e64 v36, v36, 0, s[12:13]
	v_add_u32_e32 v8, v8, v36
	s_nop 1
	v_mov_b32_dpp v36, v8 row_bcast:31 row_mask:0xf bank_mask:0xf
	v_cndmask_b32_e64 v36, 0, v36, s[14:15]
	v_add_u32_e32 v8, v8, v36
	s_and_saveexec_b64 s[38:39], s[16:17]
; %bb.7:                                ;   in Loop: Header=BB38_3 Depth=1
	ds_write_b32 v25, v8 offset:14848
; %bb.8:                                ;   in Loop: Header=BB38_3 Depth=1
	s_or_b64 exec, exec, s[38:39]
	s_waitcnt lgkmcnt(0)
	s_barrier
	s_and_saveexec_b64 s[38:39], s[0:1]
	s_cbranch_execz .LBB38_10
; %bb.9:                                ;   in Loop: Header=BB38_3 Depth=1
	ds_read_b32 v36, v18 offset:14848
	s_waitcnt lgkmcnt(0)
	s_nop 0
	v_mov_b32_dpp v37, v36 row_shr:1 row_mask:0xf bank_mask:0xf
	v_cndmask_b32_e64 v37, v37, 0, s[20:21]
	v_add_u32_e32 v36, v37, v36
	s_nop 1
	v_mov_b32_dpp v37, v36 row_shr:2 row_mask:0xf bank_mask:0xf
	v_cndmask_b32_e64 v37, 0, v37, s[22:23]
	v_add_u32_e32 v36, v36, v37
	;; [unrolled: 4-line block ×3, first 2 shown]
	ds_write_b32 v18, v36 offset:14848
.LBB38_10:                              ;   in Loop: Header=BB38_3 Depth=1
	s_or_b64 exec, exec, s[38:39]
	v_mov_b32_e32 v36, 0
	s_waitcnt lgkmcnt(0)
	s_barrier
	s_and_saveexec_b64 s[38:39], s[2:3]
; %bb.11:                               ;   in Loop: Header=BB38_3 Depth=1
	ds_read_b32 v36, v25 offset:14844
; %bb.12:                               ;   in Loop: Header=BB38_3 Depth=1
	s_or_b64 exec, exec, s[38:39]
	s_waitcnt lgkmcnt(0)
	v_add_u32_e32 v8, v36, v8
	ds_bpermute_b32 v8, v24, v8
	ds_read_b32 v37, v29 offset:14876
	s_add_i32 s36, s36, 4
	s_cmp_ge_u32 s36, s37
	s_mov_b64 s[38:39], -1
	s_waitcnt lgkmcnt(1)
	v_cndmask_b32_e64 v8, v8, v36, s[18:19]
	s_waitcnt lgkmcnt(0)
	v_lshl_add_u32 v8, v37, 16, v8
	v_add_u32_e32 v9, v8, v9
	v_add_u32_e32 v10, v9, v10
	;; [unrolled: 1-line block ×7, first 2 shown]
	ds_write2_b64 v17, v[8:9], v[10:11] offset1:1
	ds_write2_b64 v17, v[36:37], v[5:6] offset0:2 offset1:3
	s_waitcnt lgkmcnt(0)
	s_barrier
	ds_read_u16 v5, v33
	ds_read_u16 v6, v35
	v_mov_b32_e32 v11, v30
	v_readfirstlane_b32 s41, v0
	s_waitcnt lgkmcnt(0)
	v_add_u32_sdwa v10, v5, v32 dst_sel:DWORD dst_unused:UNUSED_PAD src0_sel:DWORD src1_sel:WORD_0
	v_add_u32_sdwa v9, v6, v34 dst_sel:DWORD dst_unused:UNUSED_PAD src0_sel:DWORD src1_sel:WORD_0
                                        ; implicit-def: $vgpr7_vgpr8
	s_cbranch_scc1 .LBB38_2
; %bb.13:                               ;   in Loop: Header=BB38_3 Depth=1
	v_lshrrev_b32_e32 v5, 2, v10
	v_and_b32_e32 v5, 0x7ff8, v5
	v_lshl_add_u32 v5, v10, 3, v5
	s_barrier
	ds_write_b8 v10, v30
	ds_write_b8 v9, v31
	s_waitcnt lgkmcnt(0)
	s_barrier
	ds_read_u16 v30, v26
	s_waitcnt lgkmcnt(0)
	s_barrier
	ds_write_b64 v5, v[15:16]
	v_lshrrev_b32_e32 v5, 2, v9
	v_and_b32_e32 v5, 0x7ff8, v5
	v_lshl_add_u32 v5, v9, 3, v5
	ds_write_b64 v5, v[13:14]
	s_waitcnt lgkmcnt(0)
	s_barrier
	ds_read2_b64 v[5:8], v27 offset1:1
	s_add_i32 s41, s40, -4
	s_mov_b64 s[38:39], 0
	s_waitcnt lgkmcnt(0)
	s_barrier
	s_branch .LBB38_2
.LBB38_14:
                                        ; implicit-def: $vgpr6
                                        ; implicit-def: $vgpr5
	s_cbranch_execnz .LBB38_16
	s_branch .LBB38_35
.LBB38_15:
	s_barrier
	ds_write_b8 v10, v11
	ds_write_b8 v9, v31
	s_waitcnt lgkmcnt(0)
	s_barrier
	ds_read_u8 v5, v0 offset:464
	ds_read_u8 v6, v0
	v_mad_u32_u24 v7, v10, 7, v10
	s_waitcnt lgkmcnt(0)
	s_barrier
	ds_write_b64 v7, v[15:16]
	v_mad_u32_u24 v7, v9, 7, v9
	ds_write_b64 v7, v[13:14]
	s_waitcnt lgkmcnt(0)
	s_barrier
	s_branch .LBB38_35
.LBB38_16:
	s_movk_i32 s0, 0xffe2
	v_mad_i32_i24 v15, v0, s0, v17
	s_movk_i32 s0, 0x3a0
	v_add_u32_e32 v13, v15, v19
	v_mov_b32_e32 v5, 0
	v_cmp_gt_u32_e64 s[0:1], s0, v0
	ds_write_b32 v13, v5
	ds_write_b32 v13, v5 offset:1856
	ds_write_b32 v13, v5 offset:3712
	ds_write_b32 v13, v5 offset:5568
	ds_write_b32 v13, v5 offset:7424
	ds_write_b32 v13, v5 offset:9280
	s_and_saveexec_b64 s[2:3], s[0:1]
	s_cbranch_execz .LBB38_19
; %bb.17:
	s_movk_i32 s4, 0x1d0
	v_cmp_gt_u32_e32 vcc, s4, v0
	ds_write_b32 v13, v5 offset:11136
	s_and_b64 exec, exec, vcc
; %bb.18:
	v_mov_b32_e32 v5, 0
	ds_write_b32 v13, v5 offset:12992
.LBB38_19:
	s_or_b64 exec, exec, s[2:3]
	v_and_b32_e32 v5, 7, v21
	s_movk_i32 s2, 0x1d0
	v_lshrrev_b32_e32 v6, 2, v21
	v_mad_u32_u24 v5, v5, s2, v0
	v_and_b32_e32 v6, 2, v6
	v_lshl_or_b32 v25, v5, 2, v6
	ds_read_u16 v24, v25
	v_mbcnt_hi_u32_b32 v28, -1, v23
	v_lshrrev_b16_e32 v23, 8, v21
	v_mov_b32_e32 v6, 7
	v_mov_b32_e32 v7, 2
	s_waitcnt lgkmcnt(0)
	v_add_u16_e32 v5, 1, v24
	ds_write_b16 v25, v5
	v_and_b32_e32 v5, 15, v23
	v_and_b32_sdwa v6, v5, v6 dst_sel:DWORD dst_unused:UNUSED_PAD src0_sel:WORD_0 src1_sel:DWORD
	v_lshrrev_b32_sdwa v5, v7, v5 dst_sel:DWORD dst_unused:UNUSED_PAD src0_sel:DWORD src1_sel:WORD_0
	v_mad_u32_u24 v6, v6, s2, v0
	v_and_b32_e32 v5, 2, v5
	v_lshl_or_b32 v27, v6, 2, v5
	ds_read_u16 v26, v27
	v_and_b32_e32 v5, 16, v28
	v_cmp_eq_u32_e32 vcc, 0, v5
	v_and_b32_e32 v5, 0x1c0, v0
	v_min_u32_e32 v5, 0x190, v5
	s_waitcnt lgkmcnt(0)
	v_add_u16_e32 v6, 1, v26
	ds_write_b16 v27, v6
	s_waitcnt vmcnt(0) lgkmcnt(0)
	s_barrier
	ds_read2_b64 v[9:12], v17 offset1:1
	v_add_u32_e32 v14, 63, v5
	ds_read2_b64 v[5:8], v17 offset0:2 offset1:3
	v_cmp_eq_u32_e64 s[2:3], v0, v14
	v_and_b32_e32 v14, 28, v22
	s_waitcnt lgkmcnt(1)
	v_add_u32_e32 v22, v10, v9
	v_add3_u32 v22, v22, v11, v12
	s_waitcnt lgkmcnt(0)
	v_add3_u32 v22, v22, v5, v6
	v_and_b32_e32 v16, 15, v28
	v_add3_u32 v8, v22, v7, v8
	v_cmp_eq_u32_e64 s[10:11], 0, v16
	v_cmp_lt_u32_e64 s[12:13], 1, v16
	v_mov_b32_dpp v22, v8 row_shr:1 row_mask:0xf bank_mask:0xf
	v_cndmask_b32_e64 v22, v22, 0, s[10:11]
	v_add_u32_e32 v8, v22, v8
	v_cmp_lt_u32_e64 s[14:15], 3, v16
	v_cmp_lt_u32_e64 s[18:19], 7, v16
	v_mov_b32_dpp v22, v8 row_shr:2 row_mask:0xf bank_mask:0xf
	v_cndmask_b32_e64 v22, 0, v22, s[12:13]
	v_add_u32_e32 v8, v8, v22
	v_bfe_i32 v29, v28, 4, 1
	v_cmp_lt_u32_e64 s[22:23], 31, v28
	v_mov_b32_dpp v22, v8 row_shr:4 row_mask:0xf bank_mask:0xf
	v_cndmask_b32_e64 v22, 0, v22, s[14:15]
	v_add_u32_e32 v8, v8, v22
	s_nop 1
	v_mov_b32_dpp v22, v8 row_shr:8 row_mask:0xf bank_mask:0xf
	v_cndmask_b32_e64 v16, 0, v22, s[18:19]
	v_add_u32_e32 v8, v8, v16
	s_nop 1
	v_mov_b32_dpp v16, v8 row_bcast:15 row_mask:0xf bank_mask:0xf
	v_and_b32_e32 v16, v29, v16
	v_add_u32_e32 v8, v8, v16
	s_nop 1
	v_mov_b32_dpp v16, v8 row_bcast:31 row_mask:0xf bank_mask:0xf
	v_cndmask_b32_e64 v16, 0, v16, s[22:23]
	v_add_u32_e32 v22, v8, v16
	s_and_saveexec_b64 s[4:5], s[2:3]
; %bb.20:
	ds_write_b32 v14, v22 offset:14848
; %bb.21:
	s_or_b64 exec, exec, s[4:5]
	v_and_b32_e32 v8, 7, v28
	v_cmp_gt_u32_e64 s[16:17], 8, v0
	v_cmp_lt_u32_e64 s[4:5], 3, v8
	v_cmp_lt_u32_e64 s[6:7], 1, v8
	v_cmp_eq_u32_e64 s[8:9], 0, v8
	s_waitcnt lgkmcnt(0)
	s_barrier
	s_and_saveexec_b64 s[20:21], s[16:17]
	s_cbranch_execz .LBB38_23
; %bb.22:
	ds_read_b32 v8, v13 offset:14848
	s_waitcnt lgkmcnt(0)
	s_nop 0
	v_mov_b32_dpp v16, v8 row_shr:1 row_mask:0xf bank_mask:0xf
	v_cndmask_b32_e64 v16, v16, 0, s[8:9]
	v_add_u32_e32 v8, v16, v8
	s_nop 1
	v_mov_b32_dpp v16, v8 row_shr:2 row_mask:0xf bank_mask:0xf
	v_cndmask_b32_e64 v16, 0, v16, s[6:7]
	v_add_u32_e32 v8, v8, v16
	;; [unrolled: 4-line block ×3, first 2 shown]
	ds_write_b32 v13, v8 offset:14848
.LBB38_23:
	s_or_b64 exec, exec, s[20:21]
	v_cmp_lt_u32_e64 s[20:21], 63, v0
	v_mov_b32_e32 v8, 0
	v_mov_b32_e32 v29, 0
	s_waitcnt lgkmcnt(0)
	s_barrier
	s_and_saveexec_b64 s[24:25], s[20:21]
; %bb.24:
	ds_read_b32 v29, v14 offset:14844
; %bb.25:
	s_or_b64 exec, exec, s[24:25]
	v_add_u32_e32 v16, -1, v28
	v_and_b32_e32 v30, 64, v28
	v_cmp_lt_i32_e64 s[24:25], v16, v30
	v_cndmask_b32_e64 v16, v16, v28, s[24:25]
	v_lshlrev_b32_e32 v16, 2, v16
	s_waitcnt lgkmcnt(0)
	v_add_u32_e32 v22, v29, v22
	ds_bpermute_b32 v22, v16, v22
	ds_read_b32 v30, v8 offset:14876
	v_cmp_eq_u32_e64 s[24:25], 0, v28
	s_waitcnt lgkmcnt(1)
	v_cndmask_b32_e64 v22, v22, v29, s[24:25]
	s_waitcnt lgkmcnt(0)
	v_lshl_add_u32 v28, v30, 16, v22
	v_add_u32_e32 v29, v28, v9
	v_add_u32_e32 v9, v29, v10
	;; [unrolled: 1-line block ×7, first 2 shown]
	ds_write2_b64 v17, v[28:29], v[9:10] offset1:1
	ds_write2_b64 v17, v[11:12], v[5:6] offset0:2 offset1:3
	s_waitcnt lgkmcnt(0)
	s_barrier
	ds_read_u16 v5, v25
	ds_read_u16 v6, v27
	s_waitcnt lgkmcnt(0)
	s_barrier
	v_add_u32_sdwa v5, v5, v24 dst_sel:DWORD dst_unused:UNUSED_PAD src0_sel:DWORD src1_sel:WORD_0
	v_lshrrev_b32_e32 v9, 2, v5
	v_and_b32_e32 v9, 0x7ff8, v9
	v_add_u32_sdwa v6, v6, v26 dst_sel:DWORD dst_unused:UNUSED_PAD src0_sel:DWORD src1_sel:WORD_0
	ds_write_b8 v5, v21
	ds_write_b8 v6, v23
	v_lshl_add_u32 v5, v5, 3, v9
	s_waitcnt lgkmcnt(0)
	s_barrier
	ds_read_u16 v15, v15
	s_waitcnt lgkmcnt(0)
	s_barrier
	ds_write_b64 v5, v[1:2]
	v_lshrrev_b32_e32 v1, 2, v6
	v_and_b32_e32 v7, 0xf8, v20
	v_and_b32_e32 v1, 0x7ff8, v1
	v_lshl_add_u32 v7, v19, 3, v7
	v_lshl_add_u32 v1, v6, 3, v1
	ds_write_b64 v1, v[3:4]
	s_waitcnt lgkmcnt(0)
	s_barrier
	ds_read2_b64 v[1:4], v7 offset1:1
	s_waitcnt lgkmcnt(0)
	s_barrier
	ds_write_b32 v18, v8
	ds_write_b32 v18, v8 offset:1856
	ds_write_b32 v18, v8 offset:3712
	;; [unrolled: 1-line block ×5, first 2 shown]
	s_and_saveexec_b64 s[26:27], s[0:1]
	s_cbranch_execz .LBB38_28
; %bb.26:
	s_movk_i32 s0, 0x1d0
	v_mov_b32_e32 v5, 0
	v_cmp_gt_u32_e64 s[0:1], s0, v0
	ds_write_b32 v18, v5 offset:11136
	s_and_b64 exec, exec, s[0:1]
; %bb.27:
	ds_write_b32 v18, v5 offset:12992
.LBB38_28:
	s_or_b64 exec, exec, s[26:27]
	v_lshrrev_b16_e32 v5, 4, v15
	v_and_b32_e32 v5, 15, v5
	v_mov_b32_e32 v6, 7
	v_mov_b32_e32 v7, 2
	v_and_b32_sdwa v6, v5, v6 dst_sel:DWORD dst_unused:UNUSED_PAD src0_sel:WORD_0 src1_sel:DWORD
	s_movk_i32 s0, 0x1d0
	v_lshrrev_b32_sdwa v5, v7, v5 dst_sel:DWORD dst_unused:UNUSED_PAD src0_sel:DWORD src1_sel:WORD_0
	v_mad_u32_u24 v6, v6, s0, v0
	v_and_b32_e32 v5, 2, v5
	v_lshl_or_b32 v19, v6, 2, v5
	ds_read_u16 v18, v19
	s_waitcnt lgkmcnt(0)
	v_add_u16_e32 v5, 1, v18
	ds_write_b16 v19, v5
	v_lshrrev_b16_e32 v5, 12, v15
	v_and_b32_e32 v6, 7, v5
	v_lshrrev_b32_e32 v5, 2, v5
	v_mad_u32_u24 v6, v6, s0, v0
	v_and_b32_e32 v5, 2, v5
	v_lshl_or_b32 v21, v6, 2, v5
	ds_read_u16 v20, v21
	s_waitcnt lgkmcnt(0)
	v_add_u16_e32 v5, 1, v20
	ds_write_b16 v21, v5
	s_waitcnt lgkmcnt(0)
	s_barrier
	ds_read2_b64 v[9:12], v17 offset1:1
	ds_read2_b64 v[5:8], v17 offset0:2 offset1:3
	s_waitcnt lgkmcnt(1)
	v_add_u32_e32 v22, v10, v9
	v_add3_u32 v22, v22, v11, v12
	s_waitcnt lgkmcnt(0)
	v_add3_u32 v22, v22, v5, v6
	v_add3_u32 v8, v22, v7, v8
	s_nop 1
	v_mov_b32_dpp v22, v8 row_shr:1 row_mask:0xf bank_mask:0xf
	v_cndmask_b32_e64 v22, v22, 0, s[10:11]
	v_add_u32_e32 v8, v22, v8
	s_nop 1
	v_mov_b32_dpp v22, v8 row_shr:2 row_mask:0xf bank_mask:0xf
	v_cndmask_b32_e64 v22, 0, v22, s[12:13]
	v_add_u32_e32 v8, v8, v22
	;; [unrolled: 4-line block ×4, first 2 shown]
	s_nop 1
	v_mov_b32_dpp v22, v8 row_bcast:15 row_mask:0xf bank_mask:0xf
	v_cndmask_b32_e64 v22, v22, 0, vcc
	v_add_u32_e32 v8, v8, v22
	s_nop 1
	v_mov_b32_dpp v22, v8 row_bcast:31 row_mask:0xf bank_mask:0xf
	v_cndmask_b32_e64 v22, 0, v22, s[22:23]
	v_add_u32_e32 v22, v8, v22
	s_and_saveexec_b64 s[0:1], s[2:3]
; %bb.29:
	ds_write_b32 v14, v22 offset:14848
; %bb.30:
	s_or_b64 exec, exec, s[0:1]
	s_waitcnt lgkmcnt(0)
	s_barrier
	s_and_saveexec_b64 s[0:1], s[16:17]
	s_cbranch_execz .LBB38_32
; %bb.31:
	ds_read_b32 v8, v13 offset:14848
	s_waitcnt lgkmcnt(0)
	s_nop 0
	v_mov_b32_dpp v23, v8 row_shr:1 row_mask:0xf bank_mask:0xf
	v_cndmask_b32_e64 v23, v23, 0, s[8:9]
	v_add_u32_e32 v8, v23, v8
	s_nop 1
	v_mov_b32_dpp v23, v8 row_shr:2 row_mask:0xf bank_mask:0xf
	v_cndmask_b32_e64 v23, 0, v23, s[6:7]
	v_add_u32_e32 v8, v8, v23
	;; [unrolled: 4-line block ×3, first 2 shown]
	ds_write_b32 v13, v8 offset:14848
.LBB38_32:
	s_or_b64 exec, exec, s[0:1]
	v_lshrrev_b16_e32 v8, 8, v15
	v_mov_b32_e32 v13, 0
	v_mov_b32_e32 v23, 0
	s_waitcnt lgkmcnt(0)
	s_barrier
	s_and_saveexec_b64 s[0:1], s[20:21]
; %bb.33:
	ds_read_b32 v23, v14 offset:14844
; %bb.34:
	s_or_b64 exec, exec, s[0:1]
	s_waitcnt lgkmcnt(0)
	v_add_u32_e32 v14, v23, v22
	ds_bpermute_b32 v14, v16, v14
	ds_read_b32 v13, v13 offset:14876
	s_waitcnt lgkmcnt(1)
	v_cndmask_b32_e64 v14, v14, v23, s[24:25]
	s_waitcnt lgkmcnt(0)
	v_lshl_add_u32 v13, v13, 16, v14
	v_add_u32_e32 v14, v13, v9
	v_add_u32_e32 v9, v14, v10
	;; [unrolled: 1-line block ×7, first 2 shown]
	ds_write2_b64 v17, v[13:14], v[9:10] offset1:1
	ds_write2_b64 v17, v[11:12], v[5:6] offset0:2 offset1:3
	s_waitcnt lgkmcnt(0)
	s_barrier
	ds_read_u16 v5, v21
	ds_read_u16 v6, v19
	s_waitcnt lgkmcnt(0)
	s_barrier
	v_add_u32_sdwa v7, v5, v20 dst_sel:DWORD dst_unused:UNUSED_PAD src0_sel:DWORD src1_sel:WORD_0
	v_add_u32_sdwa v9, v6, v18 dst_sel:DWORD dst_unused:UNUSED_PAD src0_sel:DWORD src1_sel:WORD_0
	ds_write_b8 v9, v15
	ds_write_b8 v7, v8
	s_waitcnt lgkmcnt(0)
	s_barrier
	ds_read_u8 v5, v0 offset:464
	ds_read_u8 v6, v0
	v_mad_u32_u24 v8, v9, 7, v9
	s_waitcnt lgkmcnt(0)
	s_barrier
	ds_write_b64 v8, v[1:2]
	v_mad_u32_u24 v1, v7, 7, v7
	ds_write_b64 v1, v[3:4]
	s_waitcnt lgkmcnt(0)
	s_barrier
.LBB38_35:
	v_lshlrev_b32_e32 v7, 3, v0
	s_waitcnt vmcnt(0)
	ds_read_b64 v[1:2], v7
	ds_read_b64 v[3:4], v7 offset:3712
	v_xor_b32_e32 v6, 0x7f, v6
	v_xor_b32_e32 v5, 0x7f, v5
	global_store_byte v0, v6, s[30:31]
	global_store_byte v0, v5, s[30:31] offset:464
	s_waitcnt lgkmcnt(1)
	global_store_dwordx2 v7, v[1:2], s[34:35]
	s_waitcnt lgkmcnt(0)
	global_store_dwordx2 v7, v[3:4], s[34:35] offset:3712
	s_endpgm
	.section	.rodata,"a",@progbits
	.p2align	6, 0x0
	.amdhsa_kernel _Z21sort_key_value_kernelILj464ELj2ELb1ELb1EcdEvPT3_PT4_jj
		.amdhsa_group_segment_fixed_size 14880
		.amdhsa_private_segment_fixed_size 0
		.amdhsa_kernarg_size 24
		.amdhsa_user_sgpr_count 6
		.amdhsa_user_sgpr_private_segment_buffer 1
		.amdhsa_user_sgpr_dispatch_ptr 0
		.amdhsa_user_sgpr_queue_ptr 0
		.amdhsa_user_sgpr_kernarg_segment_ptr 1
		.amdhsa_user_sgpr_dispatch_id 0
		.amdhsa_user_sgpr_flat_scratch_init 0
		.amdhsa_user_sgpr_private_segment_size 0
		.amdhsa_uses_dynamic_stack 0
		.amdhsa_system_sgpr_private_segment_wavefront_offset 0
		.amdhsa_system_sgpr_workgroup_id_x 1
		.amdhsa_system_sgpr_workgroup_id_y 0
		.amdhsa_system_sgpr_workgroup_id_z 0
		.amdhsa_system_sgpr_workgroup_info 0
		.amdhsa_system_vgpr_workitem_id 0
		.amdhsa_next_free_vgpr 38
		.amdhsa_next_free_sgpr 61
		.amdhsa_reserve_vcc 1
		.amdhsa_reserve_flat_scratch 0
		.amdhsa_float_round_mode_32 0
		.amdhsa_float_round_mode_16_64 0
		.amdhsa_float_denorm_mode_32 3
		.amdhsa_float_denorm_mode_16_64 3
		.amdhsa_dx10_clamp 1
		.amdhsa_ieee_mode 1
		.amdhsa_fp16_overflow 0
		.amdhsa_exception_fp_ieee_invalid_op 0
		.amdhsa_exception_fp_denorm_src 0
		.amdhsa_exception_fp_ieee_div_zero 0
		.amdhsa_exception_fp_ieee_overflow 0
		.amdhsa_exception_fp_ieee_underflow 0
		.amdhsa_exception_fp_ieee_inexact 0
		.amdhsa_exception_int_div_zero 0
	.end_amdhsa_kernel
	.section	.text._Z21sort_key_value_kernelILj464ELj2ELb1ELb1EcdEvPT3_PT4_jj,"axG",@progbits,_Z21sort_key_value_kernelILj464ELj2ELb1ELb1EcdEvPT3_PT4_jj,comdat
.Lfunc_end38:
	.size	_Z21sort_key_value_kernelILj464ELj2ELb1ELb1EcdEvPT3_PT4_jj, .Lfunc_end38-_Z21sort_key_value_kernelILj464ELj2ELb1ELb1EcdEvPT3_PT4_jj
                                        ; -- End function
	.set _Z21sort_key_value_kernelILj464ELj2ELb1ELb1EcdEvPT3_PT4_jj.num_vgpr, 38
	.set _Z21sort_key_value_kernelILj464ELj2ELb1ELb1EcdEvPT3_PT4_jj.num_agpr, 0
	.set _Z21sort_key_value_kernelILj464ELj2ELb1ELb1EcdEvPT3_PT4_jj.numbered_sgpr, 42
	.set _Z21sort_key_value_kernelILj464ELj2ELb1ELb1EcdEvPT3_PT4_jj.num_named_barrier, 0
	.set _Z21sort_key_value_kernelILj464ELj2ELb1ELb1EcdEvPT3_PT4_jj.private_seg_size, 0
	.set _Z21sort_key_value_kernelILj464ELj2ELb1ELb1EcdEvPT3_PT4_jj.uses_vcc, 1
	.set _Z21sort_key_value_kernelILj464ELj2ELb1ELb1EcdEvPT3_PT4_jj.uses_flat_scratch, 0
	.set _Z21sort_key_value_kernelILj464ELj2ELb1ELb1EcdEvPT3_PT4_jj.has_dyn_sized_stack, 0
	.set _Z21sort_key_value_kernelILj464ELj2ELb1ELb1EcdEvPT3_PT4_jj.has_recursion, 0
	.set _Z21sort_key_value_kernelILj464ELj2ELb1ELb1EcdEvPT3_PT4_jj.has_indirect_call, 0
	.section	.AMDGPU.csdata,"",@progbits
; Kernel info:
; codeLenInByte = 3400
; TotalNumSgprs: 46
; NumVgprs: 38
; ScratchSize: 0
; MemoryBound: 0
; FloatMode: 240
; IeeeMode: 1
; LDSByteSize: 14880 bytes/workgroup (compile time only)
; SGPRBlocks: 8
; VGPRBlocks: 9
; NumSGPRsForWavesPerEU: 65
; NumVGPRsForWavesPerEU: 38
; Occupancy: 6
; WaveLimiterHint : 1
; COMPUTE_PGM_RSRC2:SCRATCH_EN: 0
; COMPUTE_PGM_RSRC2:USER_SGPR: 6
; COMPUTE_PGM_RSRC2:TRAP_HANDLER: 0
; COMPUTE_PGM_RSRC2:TGID_X_EN: 1
; COMPUTE_PGM_RSRC2:TGID_Y_EN: 0
; COMPUTE_PGM_RSRC2:TGID_Z_EN: 0
; COMPUTE_PGM_RSRC2:TIDIG_COMP_CNT: 0
	.section	.text._Z21sort_key_value_kernelILj33ELj5ELb0ELb0EdiEvPT3_PT4_jj,"axG",@progbits,_Z21sort_key_value_kernelILj33ELj5ELb0ELb0EdiEvPT3_PT4_jj,comdat
	.protected	_Z21sort_key_value_kernelILj33ELj5ELb0ELb0EdiEvPT3_PT4_jj ; -- Begin function _Z21sort_key_value_kernelILj33ELj5ELb0ELb0EdiEvPT3_PT4_jj
	.globl	_Z21sort_key_value_kernelILj33ELj5ELb0ELb0EdiEvPT3_PT4_jj
	.p2align	8
	.type	_Z21sort_key_value_kernelILj33ELj5ELb0ELb0EdiEvPT3_PT4_jj,@function
_Z21sort_key_value_kernelILj33ELj5ELb0ELb0EdiEvPT3_PT4_jj: ; @_Z21sort_key_value_kernelILj33ELj5ELb0ELb0EdiEvPT3_PT4_jj
; %bb.0:
	s_load_dwordx4 s[0:3], s[4:5], 0x0
	s_load_dwordx2 s[36:37], s[4:5], 0x10
	s_mul_i32 s4, s6, 0xa5
	s_mov_b32 s5, 0
	s_lshl_b64 s[6:7], s[4:5], 3
	s_waitcnt lgkmcnt(0)
	s_add_u32 s34, s0, s6
	v_mul_u32_u24_e32 v1, 5, v0
	s_addc_u32 s35, s1, s7
	v_lshlrev_b32_e32 v43, 3, v1
	global_load_dwordx4 v[21:24], v43, s[34:35]
	global_load_dwordx4 v[25:28], v43, s[34:35] offset:16
	global_load_dwordx2 v[29:30], v43, s[34:35] offset:32
	s_lshl_b64 s[0:1], s[4:5], 2
	s_add_u32 s38, s2, s0
	v_lshlrev_b32_e32 v45, 2, v1
	s_addc_u32 s39, s3, s1
	global_load_dword v44, v45, s[38:39] offset:16
	global_load_dwordx4 v[17:20], v45, s[38:39]
	v_lshlrev_b32_e32 v41, 5, v0
	v_mbcnt_lo_u32_b32 v31, -1, 0
	s_movk_i32 s20, 0xffec
                                        ; implicit-def: $vgpr1_vgpr2_vgpr3_vgpr4_vgpr5_vgpr6_vgpr7_vgpr8_vgpr9_vgpr10_vgpr11_vgpr12_vgpr13_vgpr14_vgpr15_vgpr16
	v_lshl_add_u32 v40, v0, 3, v41
	s_cmp_eq_u32 s36, 0
	v_mbcnt_hi_u32_b32 v11, -1, v31
	v_mad_i32_i24 v39, v0, s20, v40
	s_cselect_b64 s[20:21], -1, 0
	s_cmp_eq_u32 s37, 64
	v_subrev_co_u32_e64 v14, s[6:7], 1, v11
	v_and_b32_e32 v15, 64, v11
	s_cselect_b64 s[26:27], -1, 0
	v_cmp_lt_i32_e32 vcc, v14, v15
	s_and_b64 s[20:21], s[20:21], s[26:27]
	v_and_b32_e32 v12, 15, v11
	v_and_b32_e32 v13, 16, v11
	v_cmp_lt_u32_e64 s[4:5], 31, v11
	v_cndmask_b32_e32 v11, v14, v11, vcc
	s_and_b64 vcc, exec, s[20:21]
	v_bfrev_b32_e32 v49, 1
	v_lshlrev_b32_e32 v42, 2, v11
	s_movk_i32 s0, 0x108
	v_cmp_eq_u32_e64 s[16:17], 0, v13
	s_movk_i32 s24, 0xa5
	v_mov_b32_e32 v48, 0
	s_mov_b64 s[22:23], -1
	s_mov_b32 s40, -1
	v_cmp_gt_u32_e64 s[0:1], s0, v0
	v_cmp_eq_u32_e64 s[2:3], 32, v0
	v_cmp_gt_u32_e64 s[18:19], 33, v0
	v_cmp_eq_u32_e64 s[8:9], 0, v12
	v_cmp_lt_u32_e64 s[10:11], 1, v12
	v_cmp_lt_u32_e64 s[12:13], 3, v12
	;; [unrolled: 1-line block ×3, first 2 shown]
	v_mov_b32_e32 v46, s35
	v_mov_b32_e32 v47, s39
	s_waitcnt vmcnt(4)
	v_cmp_lt_i64_e64 s[20:21], -1, v[21:22]
	v_ashrrev_i32_e32 v13, 31, v22
	v_cndmask_b32_e64 v11, -1, v49, s[20:21]
	v_cmp_lt_i64_e64 s[20:21], -1, v[23:24]
	v_ashrrev_i32_e32 v15, 31, v24
	v_cndmask_b32_e64 v14, -1, v49, s[20:21]
	s_waitcnt vmcnt(3)
	v_cmp_lt_i64_e64 s[20:21], -1, v[25:26]
	v_ashrrev_i32_e32 v31, 31, v26
	v_cndmask_b32_e64 v16, -1, v49, s[20:21]
	v_cmp_lt_i64_e64 s[20:21], -1, v[27:28]
	v_ashrrev_i32_e32 v33, 31, v28
	v_cndmask_b32_e64 v32, -1, v49, s[20:21]
	s_waitcnt vmcnt(2)
	v_cmp_lt_i64_e64 s[20:21], -1, v[29:30]
	v_ashrrev_i32_e32 v35, 31, v30
	v_cndmask_b32_e64 v34, -1, v49, s[20:21]
	v_xor_b32_e32 v12, v11, v22
	v_xor_b32_e32 v11, v13, v21
	;; [unrolled: 1-line block ×10, first 2 shown]
	s_cbranch_vccnz .LBB39_17
; %bb.1:
	s_movk_i32 s20, 0xe7
	s_movk_i32 s22, 0xc6
	;; [unrolled: 1-line block ×5, first 2 shown]
	v_mov_b32_e32 v1, v11
	v_mov_b32_e32 v3, v13
	;; [unrolled: 1-line block ×5, first 2 shown]
	v_lshlrev_b32_e32 v51, 2, v0
	v_cmp_gt_u32_e64 s[20:21], s20, v0
	v_cmp_gt_u32_e64 s[22:23], s22, v0
	;; [unrolled: 1-line block ×6, first 2 shown]
	s_sub_i32 s33, s37, s36
	s_brev_b32 s41, -2
	s_waitcnt vmcnt(0)
	v_mov_b32_e32 v35, v17
	v_mov_b32_e32 v36, v18
	v_mov_b32_e32 v37, v19
	v_mov_b32_e32 v38, v20
	v_mov_b32_e32 v66, v44
	v_mov_b32_e32 v2, v12
	v_mov_b32_e32 v4, v14
	v_mov_b32_e32 v6, v16
	v_mov_b32_e32 v8, v22
	v_mov_b32_e32 v33, v23
	s_branch .LBB39_3
.LBB39_2:                               ;   in Loop: Header=BB39_3 Depth=1
	s_andn2_b64 vcc, exec, s[42:43]
	s_mov_b32 s33, s35
	s_cbranch_vccz .LBB39_16
.LBB39_3:                               ; =>This Inner Loop Header: Depth=1
	v_mov_b32_e32 v9, v33
	v_mov_b32_e32 v26, v8
	;; [unrolled: 1-line block ×15, first 2 shown]
	s_and_saveexec_b64 s[42:43], s[0:1]
	s_cbranch_execz .LBB39_12
; %bb.4:                                ;   in Loop: Header=BB39_3 Depth=1
	ds_write_b32 v51, v48
	s_and_b64 exec, exec, s[20:21]
	s_cbranch_execz .LBB39_12
; %bb.5:                                ;   in Loop: Header=BB39_3 Depth=1
	ds_write_b32 v51, v48 offset:132
	s_and_b64 exec, exec, s[22:23]
	s_cbranch_execz .LBB39_12
; %bb.6:                                ;   in Loop: Header=BB39_3 Depth=1
	ds_write_b32 v51, v48 offset:264
	;; [unrolled: 4-line block ×5, first 2 shown]
	s_and_b64 exec, exec, s[30:31]
	s_cbranch_execz .LBB39_12
; %bb.10:                               ;   in Loop: Header=BB39_3 Depth=1
	ds_write_b32 v51, v48 offset:792
	s_and_b64 exec, exec, s[18:19]
; %bb.11:                               ;   in Loop: Header=BB39_3 Depth=1
	ds_write_b32 v51, v48 offset:924
.LBB39_12:                              ;   in Loop: Header=BB39_3 Depth=1
	s_or_b64 exec, exec, s[42:43]
	v_cmp_ne_u64_e32 vcc, s[40:41], v[31:32]
	s_min_u32 s35, s33, 4
	v_cndmask_b32_e32 v2, v49, v32, vcc
	v_cndmask_b32_e32 v1, 0, v31, vcc
	s_lshl_b32 s35, -1, s35
	v_lshrrev_b64 v[1:2], s36, v[1:2]
	s_not_b32 s35, s35
	v_and_b32_e32 v1, s35, v1
	v_and_b32_e32 v2, 7, v1
	v_lshrrev_b32_e32 v1, 2, v1
	v_mad_u32_u24 v2, v2, 33, v0
	v_and_b32_e32 v1, 30, v1
	v_cmp_ne_u64_e32 vcc, s[40:41], v[29:30]
	v_lshl_add_u32 v34, v2, 2, v1
	ds_read_u16 v33, v34
	v_cndmask_b32_e32 v2, v49, v30, vcc
	v_cndmask_b32_e32 v1, 0, v29, vcc
	v_lshrrev_b64 v[1:2], s36, v[1:2]
	v_cmp_ne_u64_e32 vcc, s[40:41], v[27:28]
	v_and_b32_e32 v1, s35, v1
	v_and_b32_e32 v2, 7, v1
	v_lshrrev_b32_e32 v1, 2, v1
	s_waitcnt lgkmcnt(0)
	v_add_u16_e32 v3, 1, v33
	v_mad_u32_u24 v2, v2, 33, v0
	v_and_b32_e32 v1, 30, v1
	ds_write_b16 v34, v3
	v_lshl_add_u32 v36, v2, 2, v1
	ds_read_u16 v35, v36
	v_cndmask_b32_e32 v2, v49, v28, vcc
	v_cndmask_b32_e32 v1, 0, v27, vcc
	v_lshrrev_b64 v[1:2], s36, v[1:2]
	v_cmp_ne_u64_e32 vcc, s[40:41], v[25:26]
	v_and_b32_e32 v1, s35, v1
	v_and_b32_e32 v2, 7, v1
	v_lshrrev_b32_e32 v1, 2, v1
	s_waitcnt lgkmcnt(0)
	v_add_u16_e32 v3, 1, v35
	v_mad_u32_u24 v2, v2, 33, v0
	v_and_b32_e32 v1, 30, v1
	ds_write_b16 v36, v3
	;; [unrolled: 14-line block ×3, first 2 shown]
	v_lshl_add_u32 v57, v2, 2, v1
	ds_read_u16 v56, v57
	v_cndmask_b32_e32 v2, v49, v10, vcc
	v_cndmask_b32_e32 v1, 0, v9, vcc
	v_lshrrev_b64 v[1:2], s36, v[1:2]
	v_and_b32_e32 v1, s35, v1
	v_and_b32_e32 v2, 7, v1
	v_lshrrev_b32_e32 v1, 2, v1
	s_waitcnt lgkmcnt(0)
	v_add_u16_e32 v3, 1, v56
	v_mad_u32_u24 v2, v2, 33, v0
	v_and_b32_e32 v1, 30, v1
	ds_write_b16 v57, v3
	v_lshl_add_u32 v58, v2, 2, v1
	ds_read_u16 v60, v58
	s_waitcnt lgkmcnt(0)
	v_add_u16_e32 v1, 1, v60
	ds_write_b16 v58, v1
	s_waitcnt lgkmcnt(0)
	; wave barrier
	ds_read2_b64 v[5:8], v41 offset1:1
	ds_read2_b64 v[1:4], v41 offset0:2 offset1:3
	s_waitcnt lgkmcnt(1)
	v_add_u32_e32 v59, v6, v5
	v_add3_u32 v59, v59, v7, v8
	s_waitcnt lgkmcnt(0)
	v_add3_u32 v59, v59, v1, v2
	v_add3_u32 v4, v59, v3, v4
	s_nop 1
	v_mov_b32_dpp v59, v4 row_shr:1 row_mask:0xf bank_mask:0xf
	v_cndmask_b32_e64 v59, v59, 0, s[8:9]
	v_add_u32_e32 v4, v59, v4
	s_nop 1
	v_mov_b32_dpp v59, v4 row_shr:2 row_mask:0xf bank_mask:0xf
	v_cndmask_b32_e64 v59, 0, v59, s[10:11]
	v_add_u32_e32 v4, v4, v59
	;; [unrolled: 4-line block ×4, first 2 shown]
	s_nop 1
	v_mov_b32_dpp v59, v4 row_bcast:15 row_mask:0xf bank_mask:0xf
	v_cndmask_b32_e64 v59, v59, 0, s[16:17]
	v_add_u32_e32 v4, v4, v59
	s_nop 1
	v_mov_b32_dpp v59, v4 row_bcast:31 row_mask:0xf bank_mask:0xf
	v_cndmask_b32_e64 v59, 0, v59, s[4:5]
	v_add_u32_e32 v4, v4, v59
	s_and_saveexec_b64 s[42:43], s[2:3]
; %bb.13:                               ;   in Loop: Header=BB39_3 Depth=1
	ds_write_b32 v48, v4 offset:1056
; %bb.14:                               ;   in Loop: Header=BB39_3 Depth=1
	s_or_b64 exec, exec, s[42:43]
	ds_bpermute_b32 v4, v42, v4
	s_waitcnt lgkmcnt(0)
	; wave barrier
	ds_read_b32 v59, v48 offset:1056
	s_add_i32 s36, s36, 4
	v_cndmask_b32_e64 v4, v4, 0, s[6:7]
	s_cmp_ge_u32 s36, s37
	s_mov_b64 s[42:43], -1
	s_waitcnt lgkmcnt(0)
	v_lshl_add_u32 v4, v59, 16, v4
	v_add_u32_e32 v5, v4, v5
	v_add_u32_e32 v6, v5, v6
	;; [unrolled: 1-line block ×7, first 2 shown]
	ds_write2_b64 v41, v[4:5], v[6:7] offset1:1
	ds_write2_b64 v41, v[61:62], v[1:2] offset0:2 offset1:3
	s_waitcnt lgkmcnt(0)
	; wave barrier
	ds_read_u16 v1, v34
	ds_read_u16 v2, v36
	;; [unrolled: 1-line block ×5, first 2 shown]
	s_waitcnt lgkmcnt(4)
	v_add_u32_sdwa v61, v1, v33 dst_sel:DWORD dst_unused:UNUSED_PAD src0_sel:DWORD src1_sel:WORD_0
	s_waitcnt lgkmcnt(3)
	v_add_u32_sdwa v59, v2, v35 dst_sel:DWORD dst_unused:UNUSED_PAD src0_sel:DWORD src1_sel:WORD_0
	s_waitcnt lgkmcnt(2)
	v_add_u32_sdwa v58, v3, v37 dst_sel:DWORD dst_unused:UNUSED_PAD src0_sel:DWORD src1_sel:WORD_0
	s_waitcnt lgkmcnt(1)
	v_add_u32_sdwa v57, v4, v56 dst_sel:DWORD dst_unused:UNUSED_PAD src0_sel:DWORD src1_sel:WORD_0
	s_waitcnt lgkmcnt(0)
	v_add_u32_sdwa v56, v5, v60 dst_sel:DWORD dst_unused:UNUSED_PAD src0_sel:DWORD src1_sel:WORD_0
	v_lshlrev_b32_e32 v65, 3, v61
	v_lshlrev_b32_e32 v64, 3, v59
	;; [unrolled: 1-line block ×5, first 2 shown]
	v_readfirstlane_b32 s35, v0
                                        ; implicit-def: $vgpr33_vgpr34
                                        ; implicit-def: $vgpr7_vgpr8
                                        ; implicit-def: $vgpr3_vgpr4
                                        ; implicit-def: $vgpr66
                                        ; implicit-def: $vgpr38
                                        ; implicit-def: $vgpr36
	s_cbranch_scc1 .LBB39_2
; %bb.15:                               ;   in Loop: Header=BB39_3 Depth=1
	v_lshlrev_b32_e32 v35, 2, v61
	v_sub_u32_e32 v35, v65, v35
	; wave barrier
	ds_write_b64 v65, v[31:32]
	ds_write_b64 v64, v[29:30]
	;; [unrolled: 1-line block ×5, first 2 shown]
	s_waitcnt lgkmcnt(0)
	; wave barrier
	ds_read2_b64 v[1:4], v40 offset1:1
	ds_read2_b64 v[5:8], v40 offset0:2 offset1:3
	ds_read_b64 v[33:34], v40 offset:32
	s_waitcnt lgkmcnt(0)
	; wave barrier
	ds_write_b32 v35, v55
	v_lshlrev_b32_e32 v35, 2, v59
	v_sub_u32_e32 v35, v64, v35
	ds_write_b32 v35, v54
	v_lshlrev_b32_e32 v35, 2, v58
	v_sub_u32_e32 v35, v63, v35
	;; [unrolled: 3-line block ×4, first 2 shown]
	ds_write_b32 v35, v50
	s_waitcnt lgkmcnt(0)
	; wave barrier
	ds_read2_b32 v[35:36], v39 offset1:1
	ds_read2_b32 v[37:38], v39 offset0:2 offset1:3
	ds_read_b32 v66, v39 offset:16
	s_add_i32 s35, s33, -4
	s_mov_b64 s[42:43], 0
	s_waitcnt lgkmcnt(0)
	; wave barrier
	s_branch .LBB39_2
.LBB39_16:
	; wave barrier
	ds_write_b64 v65, v[31:32]
	ds_write_b64 v64, v[29:30]
	;; [unrolled: 1-line block ×5, first 2 shown]
	v_lshlrev_b32_e32 v25, 2, v61
	v_sub_u32_e32 v25, v65, v25
	s_waitcnt lgkmcnt(0)
	; wave barrier
	ds_read2_b64 v[1:4], v40 offset1:1
	ds_read2_b64 v[5:8], v40 offset0:2 offset1:3
	ds_read_b64 v[9:10], v40 offset:32
	s_waitcnt lgkmcnt(0)
	; wave barrier
	ds_write_b32 v25, v55
	v_lshlrev_b32_e32 v25, 2, v59
	v_sub_u32_e32 v25, v64, v25
	ds_write_b32 v25, v54
	v_lshlrev_b32_e32 v25, 2, v58
	v_sub_u32_e32 v25, v63, v25
	ds_write_b32 v25, v53
	v_lshlrev_b32_e32 v25, 2, v57
	v_sub_u32_e32 v25, v62, v25
	ds_write_b32 v25, v52
	v_lshlrev_b32_e32 v25, 2, v56
	v_sub_u32_e32 v25, v60, v25
	s_mov_b64 s[22:23], 0
	ds_write_b32 v25, v50
	s_waitcnt lgkmcnt(0)
	; wave barrier
.LBB39_17:
	v_add_co_u32_e32 v27, vcc, s34, v43
	v_addc_co_u32_e32 v28, vcc, 0, v46, vcc
	v_add_co_u32_e32 v25, vcc, s38, v45
	v_addc_co_u32_e32 v26, vcc, 0, v47, vcc
	s_and_b64 vcc, exec, s[22:23]
	s_cbranch_vccz .LBB39_34
; %bb.18:
	v_lshlrev_b32_e32 v1, 4, v0
	v_sub_u32_e32 v1, 0, v1
	s_movk_i32 s18, 0xe7
	s_movk_i32 s20, 0xc6
	;; [unrolled: 1-line block ×6, first 2 shown]
	s_mov_b32 s36, -1
	v_add_u32_e32 v50, v39, v1
	v_mov_b32_e32 v1, v11
	v_mov_b32_e32 v3, v13
	;; [unrolled: 1-line block ×5, first 2 shown]
	v_cmp_gt_u32_e64 s[18:19], s18, v0
	v_cmp_gt_u32_e64 s[20:21], s20, v0
	;; [unrolled: 1-line block ×7, first 2 shown]
	s_mov_b64 s[34:35], 0
	v_mov_b32_e32 v49, 0
	s_brev_b32 s37, -2
	v_bfrev_b32_e32 v51, 1
	v_mov_b32_e32 v2, v12
	v_mov_b32_e32 v4, v14
	;; [unrolled: 1-line block ×5, first 2 shown]
	s_branch .LBB39_20
.LBB39_19:                              ;   in Loop: Header=BB39_20 Depth=1
	s_andn2_b64 vcc, exec, s[38:39]
	s_cbranch_vccz .LBB39_33
.LBB39_20:                              ; =>This Inner Loop Header: Depth=1
	v_mov_b32_e32 v9, v37
	v_mov_b32_e32 v30, v8
	v_mov_b32_e32 v32, v6
	v_mov_b32_e32 v34, v4
	v_mov_b32_e32 v36, v2
	v_mov_b32_e32 v10, v38
	v_mov_b32_e32 v29, v7
	v_mov_b32_e32 v31, v5
	v_mov_b32_e32 v33, v3
	v_mov_b32_e32 v35, v1
	s_waitcnt vmcnt(1)
	v_mov_b32_e32 v43, v44
	s_waitcnt vmcnt(0)
	v_mov_b32_e32 v45, v20
	v_mov_b32_e32 v46, v19
	;; [unrolled: 1-line block ×4, first 2 shown]
	s_and_saveexec_b64 s[38:39], s[0:1]
	s_cbranch_execz .LBB39_29
; %bb.21:                               ;   in Loop: Header=BB39_20 Depth=1
	ds_write_b32 v50, v49
	s_and_b64 exec, exec, s[18:19]
	s_cbranch_execz .LBB39_29
; %bb.22:                               ;   in Loop: Header=BB39_20 Depth=1
	ds_write_b32 v50, v49 offset:132
	s_and_b64 exec, exec, s[20:21]
	s_cbranch_execz .LBB39_29
; %bb.23:                               ;   in Loop: Header=BB39_20 Depth=1
	ds_write_b32 v50, v49 offset:264
	;; [unrolled: 4-line block ×6, first 2 shown]
	s_and_b64 exec, exec, s[30:31]
; %bb.28:                               ;   in Loop: Header=BB39_20 Depth=1
	ds_write_b32 v50, v49 offset:924
.LBB39_29:                              ;   in Loop: Header=BB39_20 Depth=1
	s_or_b64 exec, exec, s[38:39]
	v_cmp_ne_u64_e32 vcc, s[36:37], v[35:36]
	v_cndmask_b32_e32 v2, v51, v36, vcc
	v_cndmask_b32_e32 v1, 0, v35, vcc
	v_lshrrev_b64 v[1:2], s34, v[1:2]
	v_cmp_ne_u64_e32 vcc, s[36:37], v[33:34]
	v_and_b32_e32 v2, 7, v1
	v_lshrrev_b32_e32 v1, 2, v1
	v_mad_u32_u24 v2, v2, 33, v0
	v_and_b32_e32 v1, 2, v1
	v_lshl_or_b32 v18, v2, 2, v1
	ds_read_u16 v17, v18
	v_cndmask_b32_e32 v2, v51, v34, vcc
	v_cndmask_b32_e32 v1, 0, v33, vcc
	v_lshrrev_b64 v[1:2], s34, v[1:2]
	v_cmp_ne_u64_e32 vcc, s[36:37], v[31:32]
	v_and_b32_e32 v2, 7, v1
	v_lshrrev_b32_e32 v1, 2, v1
	s_waitcnt lgkmcnt(0)
	v_add_u16_e32 v3, 1, v17
	v_mad_u32_u24 v2, v2, 33, v0
	v_and_b32_e32 v1, 2, v1
	ds_write_b16 v18, v3
	v_lshl_or_b32 v20, v2, 2, v1
	ds_read_u16 v19, v20
	v_cndmask_b32_e32 v2, v51, v32, vcc
	v_cndmask_b32_e32 v1, 0, v31, vcc
	v_lshrrev_b64 v[1:2], s34, v[1:2]
	v_cmp_ne_u64_e32 vcc, s[36:37], v[29:30]
	v_and_b32_e32 v2, 7, v1
	v_lshrrev_b32_e32 v1, 2, v1
	s_waitcnt lgkmcnt(0)
	v_add_u16_e32 v3, 1, v19
	v_mad_u32_u24 v2, v2, 33, v0
	v_and_b32_e32 v1, 2, v1
	ds_write_b16 v20, v3
	;; [unrolled: 13-line block ×3, first 2 shown]
	v_lshl_or_b32 v52, v2, 2, v1
	ds_read_u16 v44, v52
	v_cndmask_b32_e32 v2, v51, v10, vcc
	v_cndmask_b32_e32 v1, 0, v9, vcc
	v_lshrrev_b64 v[1:2], s34, v[1:2]
	v_and_b32_e32 v2, 7, v1
	v_lshrrev_b32_e32 v1, 2, v1
	s_waitcnt lgkmcnt(0)
	v_add_u16_e32 v3, 1, v44
	v_mad_u32_u24 v2, v2, 33, v0
	v_and_b32_e32 v1, 2, v1
	ds_write_b16 v52, v3
	v_lshl_or_b32 v53, v2, 2, v1
	ds_read_u16 v57, v53
	s_waitcnt lgkmcnt(0)
	v_add_u16_e32 v1, 1, v57
	ds_write_b16 v53, v1
	s_waitcnt lgkmcnt(0)
	; wave barrier
	ds_read2_b64 v[5:8], v41 offset1:1
	ds_read2_b64 v[1:4], v41 offset0:2 offset1:3
	s_waitcnt lgkmcnt(1)
	v_add_u32_e32 v54, v6, v5
	v_add3_u32 v54, v54, v7, v8
	s_waitcnt lgkmcnt(0)
	v_add3_u32 v54, v54, v1, v2
	v_add3_u32 v4, v54, v3, v4
	s_nop 1
	v_mov_b32_dpp v54, v4 row_shr:1 row_mask:0xf bank_mask:0xf
	v_cndmask_b32_e64 v54, v54, 0, s[8:9]
	v_add_u32_e32 v4, v54, v4
	s_nop 1
	v_mov_b32_dpp v54, v4 row_shr:2 row_mask:0xf bank_mask:0xf
	v_cndmask_b32_e64 v54, 0, v54, s[10:11]
	v_add_u32_e32 v4, v4, v54
	;; [unrolled: 4-line block ×4, first 2 shown]
	s_nop 1
	v_mov_b32_dpp v54, v4 row_bcast:15 row_mask:0xf bank_mask:0xf
	v_cndmask_b32_e64 v54, v54, 0, s[16:17]
	v_add_u32_e32 v4, v4, v54
	s_nop 1
	v_mov_b32_dpp v54, v4 row_bcast:31 row_mask:0xf bank_mask:0xf
	v_cndmask_b32_e64 v54, 0, v54, s[4:5]
	v_add_u32_e32 v4, v4, v54
	s_and_saveexec_b64 s[38:39], s[2:3]
; %bb.30:                               ;   in Loop: Header=BB39_20 Depth=1
	ds_write_b32 v49, v4 offset:1056
; %bb.31:                               ;   in Loop: Header=BB39_20 Depth=1
	s_or_b64 exec, exec, s[38:39]
	ds_bpermute_b32 v4, v42, v4
	s_waitcnt lgkmcnt(0)
	; wave barrier
	ds_read_b32 v54, v49 offset:1056
	s_mov_b64 s[38:39], -1
	v_cndmask_b32_e64 v4, v4, 0, s[6:7]
	s_cmp_gt_u32 s34, 59
	s_waitcnt lgkmcnt(0)
	v_lshl_add_u32 v4, v54, 16, v4
	v_add_u32_e32 v5, v4, v5
	v_add_u32_e32 v6, v5, v6
	;; [unrolled: 1-line block ×7, first 2 shown]
	ds_write2_b64 v41, v[4:5], v[6:7] offset1:1
	ds_write2_b64 v41, v[54:55], v[1:2] offset0:2 offset1:3
	s_waitcnt lgkmcnt(0)
	; wave barrier
	ds_read_u16 v1, v18
	ds_read_u16 v2, v20
	;; [unrolled: 1-line block ×5, first 2 shown]
	s_waitcnt lgkmcnt(4)
	v_add_u32_sdwa v56, v1, v17 dst_sel:DWORD dst_unused:UNUSED_PAD src0_sel:DWORD src1_sel:WORD_0
	s_waitcnt lgkmcnt(3)
	v_add_u32_sdwa v55, v2, v19 dst_sel:DWORD dst_unused:UNUSED_PAD src0_sel:DWORD src1_sel:WORD_0
	;; [unrolled: 2-line block ×5, first 2 shown]
	v_mov_b32_e32 v38, v24
	v_mov_b32_e32 v7, v21
	;; [unrolled: 1-line block ×10, first 2 shown]
                                        ; implicit-def: $vgpr44
                                        ; implicit-def: $vgpr20
	s_cbranch_scc1 .LBB39_19
; %bb.32:                               ;   in Loop: Header=BB39_20 Depth=1
	v_lshlrev_b32_e32 v17, 3, v56
	v_lshlrev_b32_e32 v57, 2, v56
	; wave barrier
	ds_write_b64 v17, v[35:36]
	v_lshlrev_b32_e32 v18, 3, v55
	v_lshlrev_b32_e32 v19, 3, v54
	v_lshlrev_b32_e32 v20, 3, v53
	v_lshlrev_b32_e32 v44, 3, v52
	v_sub_u32_e32 v17, v17, v57
	ds_write_b64 v18, v[33:34]
	ds_write_b64 v19, v[31:32]
	;; [unrolled: 1-line block ×4, first 2 shown]
	s_waitcnt lgkmcnt(0)
	; wave barrier
	ds_read2_b64 v[1:4], v40 offset1:1
	ds_read2_b64 v[5:8], v40 offset0:2 offset1:3
	ds_read_b64 v[37:38], v40 offset:32
	s_waitcnt lgkmcnt(0)
	; wave barrier
	ds_write_b32 v17, v48
	v_lshlrev_b32_e32 v17, 2, v55
	v_sub_u32_e32 v17, v18, v17
	ds_write_b32 v17, v47
	v_lshlrev_b32_e32 v17, 2, v54
	v_sub_u32_e32 v17, v19, v17
	;; [unrolled: 3-line block ×4, first 2 shown]
	ds_write_b32 v17, v43
	s_waitcnt lgkmcnt(0)
	; wave barrier
	ds_read2_b32 v[17:18], v39 offset1:1
	ds_read2_b32 v[19:20], v39 offset0:2 offset1:3
	ds_read_b32 v44, v39 offset:16
	s_add_u32 s34, s34, 4
	s_addc_u32 s35, s35, 0
	s_mov_b64 s[38:39], 0
	s_waitcnt lgkmcnt(0)
	; wave barrier
	s_branch .LBB39_19
.LBB39_33:
	v_lshlrev_b32_e32 v0, 3, v56
	v_lshlrev_b32_e32 v15, 2, v56
	; wave barrier
	ds_write_b64 v0, v[35:36]
	v_lshlrev_b32_e32 v11, 3, v55
	v_lshlrev_b32_e32 v12, 3, v54
	;; [unrolled: 1-line block ×4, first 2 shown]
	v_sub_u32_e32 v0, v0, v15
	ds_write_b64 v11, v[33:34]
	ds_write_b64 v12, v[31:32]
	;; [unrolled: 1-line block ×4, first 2 shown]
	s_waitcnt lgkmcnt(0)
	; wave barrier
	ds_read2_b64 v[1:4], v40 offset1:1
	ds_read2_b64 v[5:8], v40 offset0:2 offset1:3
	ds_read_b64 v[9:10], v40 offset:32
	s_waitcnt lgkmcnt(0)
	; wave barrier
	ds_write_b32 v0, v48
	v_lshlrev_b32_e32 v0, 2, v55
	v_sub_u32_e32 v0, v11, v0
	ds_write_b32 v0, v47
	v_lshlrev_b32_e32 v0, 2, v54
	v_sub_u32_e32 v0, v12, v0
	ds_write_b32 v0, v46
	v_lshlrev_b32_e32 v0, 2, v53
	v_sub_u32_e32 v0, v13, v0
	ds_write_b32 v0, v45
	v_lshlrev_b32_e32 v0, 2, v52
	v_sub_u32_e32 v0, v14, v0
	ds_write_b32 v0, v43
	s_waitcnt lgkmcnt(0)
	; wave barrier
.LBB39_34:
	v_cmp_lt_i64_e32 vcc, -1, v[1:2]
	v_bfrev_b32_e32 v15, 1
	v_cndmask_b32_e64 v16, v15, -1, vcc
	v_cmp_lt_i64_e32 vcc, -1, v[3:4]
	s_waitcnt vmcnt(0)
	v_ashrrev_i32_e32 v17, 31, v2
	v_not_b32_e32 v17, v17
	v_xor_b32_e32 v2, v16, v2
	v_cndmask_b32_e64 v16, v15, -1, vcc
	v_cmp_lt_i64_e32 vcc, -1, v[5:6]
	v_xor_b32_e32 v1, v17, v1
	v_ashrrev_i32_e32 v17, 31, v4
	ds_read2_b32 v[11:12], v39 offset1:1
	ds_read2_b32 v[13:14], v39 offset0:2 offset1:3
	ds_read_b32 v0, v39 offset:16
	v_not_b32_e32 v17, v17
	v_xor_b32_e32 v4, v16, v4
	v_cndmask_b32_e64 v16, v15, -1, vcc
	v_cmp_lt_i64_e32 vcc, -1, v[7:8]
	v_xor_b32_e32 v3, v17, v3
	v_ashrrev_i32_e32 v17, 31, v6
	v_not_b32_e32 v17, v17
	v_xor_b32_e32 v6, v16, v6
	v_cndmask_b32_e64 v16, v15, -1, vcc
	v_cmp_lt_i64_e32 vcc, -1, v[9:10]
	v_xor_b32_e32 v5, v17, v5
	v_ashrrev_i32_e32 v17, 31, v8
	v_xor_b32_e32 v8, v16, v8
	v_ashrrev_i32_e32 v16, 31, v10
	v_not_b32_e32 v17, v17
	v_cndmask_b32_e64 v15, v15, -1, vcc
	v_not_b32_e32 v16, v16
	v_xor_b32_e32 v7, v17, v7
	v_xor_b32_e32 v10, v15, v10
	;; [unrolled: 1-line block ×3, first 2 shown]
	global_store_dwordx4 v[27:28], v[1:4], off
	global_store_dwordx4 v[27:28], v[5:8], off offset:16
	global_store_dwordx2 v[27:28], v[9:10], off offset:32
	s_waitcnt lgkmcnt(1)
	global_store_dwordx4 v[25:26], v[11:14], off
	s_waitcnt lgkmcnt(0)
	global_store_dword v[25:26], v0, off offset:16
	s_endpgm
	.section	.rodata,"a",@progbits
	.p2align	6, 0x0
	.amdhsa_kernel _Z21sort_key_value_kernelILj33ELj5ELb0ELb0EdiEvPT3_PT4_jj
		.amdhsa_group_segment_fixed_size 1328
		.amdhsa_private_segment_fixed_size 0
		.amdhsa_kernarg_size 24
		.amdhsa_user_sgpr_count 6
		.amdhsa_user_sgpr_private_segment_buffer 1
		.amdhsa_user_sgpr_dispatch_ptr 0
		.amdhsa_user_sgpr_queue_ptr 0
		.amdhsa_user_sgpr_kernarg_segment_ptr 1
		.amdhsa_user_sgpr_dispatch_id 0
		.amdhsa_user_sgpr_flat_scratch_init 0
		.amdhsa_user_sgpr_private_segment_size 0
		.amdhsa_uses_dynamic_stack 0
		.amdhsa_system_sgpr_private_segment_wavefront_offset 0
		.amdhsa_system_sgpr_workgroup_id_x 1
		.amdhsa_system_sgpr_workgroup_id_y 0
		.amdhsa_system_sgpr_workgroup_id_z 0
		.amdhsa_system_sgpr_workgroup_info 0
		.amdhsa_system_vgpr_workitem_id 0
		.amdhsa_next_free_vgpr 67
		.amdhsa_next_free_sgpr 44
		.amdhsa_reserve_vcc 1
		.amdhsa_reserve_flat_scratch 0
		.amdhsa_float_round_mode_32 0
		.amdhsa_float_round_mode_16_64 0
		.amdhsa_float_denorm_mode_32 3
		.amdhsa_float_denorm_mode_16_64 3
		.amdhsa_dx10_clamp 1
		.amdhsa_ieee_mode 1
		.amdhsa_fp16_overflow 0
		.amdhsa_exception_fp_ieee_invalid_op 0
		.amdhsa_exception_fp_denorm_src 0
		.amdhsa_exception_fp_ieee_div_zero 0
		.amdhsa_exception_fp_ieee_overflow 0
		.amdhsa_exception_fp_ieee_underflow 0
		.amdhsa_exception_fp_ieee_inexact 0
		.amdhsa_exception_int_div_zero 0
	.end_amdhsa_kernel
	.section	.text._Z21sort_key_value_kernelILj33ELj5ELb0ELb0EdiEvPT3_PT4_jj,"axG",@progbits,_Z21sort_key_value_kernelILj33ELj5ELb0ELb0EdiEvPT3_PT4_jj,comdat
.Lfunc_end39:
	.size	_Z21sort_key_value_kernelILj33ELj5ELb0ELb0EdiEvPT3_PT4_jj, .Lfunc_end39-_Z21sort_key_value_kernelILj33ELj5ELb0ELb0EdiEvPT3_PT4_jj
                                        ; -- End function
	.set _Z21sort_key_value_kernelILj33ELj5ELb0ELb0EdiEvPT3_PT4_jj.num_vgpr, 67
	.set _Z21sort_key_value_kernelILj33ELj5ELb0ELb0EdiEvPT3_PT4_jj.num_agpr, 0
	.set _Z21sort_key_value_kernelILj33ELj5ELb0ELb0EdiEvPT3_PT4_jj.numbered_sgpr, 44
	.set _Z21sort_key_value_kernelILj33ELj5ELb0ELb0EdiEvPT3_PT4_jj.num_named_barrier, 0
	.set _Z21sort_key_value_kernelILj33ELj5ELb0ELb0EdiEvPT3_PT4_jj.private_seg_size, 0
	.set _Z21sort_key_value_kernelILj33ELj5ELb0ELb0EdiEvPT3_PT4_jj.uses_vcc, 1
	.set _Z21sort_key_value_kernelILj33ELj5ELb0ELb0EdiEvPT3_PT4_jj.uses_flat_scratch, 0
	.set _Z21sort_key_value_kernelILj33ELj5ELb0ELb0EdiEvPT3_PT4_jj.has_dyn_sized_stack, 0
	.set _Z21sort_key_value_kernelILj33ELj5ELb0ELb0EdiEvPT3_PT4_jj.has_recursion, 0
	.set _Z21sort_key_value_kernelILj33ELj5ELb0ELb0EdiEvPT3_PT4_jj.has_indirect_call, 0
	.section	.AMDGPU.csdata,"",@progbits
; Kernel info:
; codeLenInByte = 3824
; TotalNumSgprs: 48
; NumVgprs: 67
; ScratchSize: 0
; MemoryBound: 0
; FloatMode: 240
; IeeeMode: 1
; LDSByteSize: 1328 bytes/workgroup (compile time only)
; SGPRBlocks: 5
; VGPRBlocks: 16
; NumSGPRsForWavesPerEU: 48
; NumVGPRsForWavesPerEU: 67
; Occupancy: 3
; WaveLimiterHint : 0
; COMPUTE_PGM_RSRC2:SCRATCH_EN: 0
; COMPUTE_PGM_RSRC2:USER_SGPR: 6
; COMPUTE_PGM_RSRC2:TRAP_HANDLER: 0
; COMPUTE_PGM_RSRC2:TGID_X_EN: 1
; COMPUTE_PGM_RSRC2:TGID_Y_EN: 0
; COMPUTE_PGM_RSRC2:TGID_Z_EN: 0
; COMPUTE_PGM_RSRC2:TIDIG_COMP_CNT: 0
	.section	.text._Z21sort_key_value_kernelILj256ELj7ELb0ELb0EtcEvPT3_PT4_jj,"axG",@progbits,_Z21sort_key_value_kernelILj256ELj7ELb0ELb0EtcEvPT3_PT4_jj,comdat
	.protected	_Z21sort_key_value_kernelILj256ELj7ELb0ELb0EtcEvPT3_PT4_jj ; -- Begin function _Z21sort_key_value_kernelILj256ELj7ELb0ELb0EtcEvPT3_PT4_jj
	.globl	_Z21sort_key_value_kernelILj256ELj7ELb0ELb0EtcEvPT3_PT4_jj
	.p2align	8
	.type	_Z21sort_key_value_kernelILj256ELj7ELb0ELb0EtcEvPT3_PT4_jj,@function
_Z21sort_key_value_kernelILj256ELj7ELb0ELb0EtcEvPT3_PT4_jj: ; @_Z21sort_key_value_kernelILj256ELj7ELb0ELb0EtcEvPT3_PT4_jj
; %bb.0:
	s_load_dwordx4 s[0:3], s[4:5], 0x0
	s_load_dwordx2 s[36:37], s[4:5], 0x10
	s_mul_i32 s28, s6, 0x700
	s_mov_b32 s29, 0
	s_lshl_b64 s[6:7], s[28:29], 1
	s_waitcnt lgkmcnt(0)
	s_add_u32 s30, s0, s6
	s_addc_u32 s31, s1, s7
	v_mul_u32_u24_e32 v13, 7, v0
	s_add_u32 s34, s2, s28
	v_lshlrev_b32_e32 v14, 1, v13
	s_addc_u32 s35, s3, 0
	global_load_dwordx3 v[3:5], v14, s[30:31]
	global_load_ushort v6, v14, s[30:31] offset:12
	global_load_dword v8, v13, s[34:35]
	global_load_ushort v24, v13, s[34:35] offset:4
	global_load_sbyte v23, v13, s[34:35] offset:6
	v_mbcnt_lo_u32_b32 v10, -1, 0
	s_cmp_lg_u32 s36, 0
	v_mbcnt_hi_u32_b32 v17, -1, v10
	v_lshrrev_b32_e32 v10, 6, v0
	s_cselect_b64 s[10:11], -1, 0
	s_cmp_lg_u32 s37, 16
	s_movk_i32 s8, 0x1c0
	v_mul_u32_u24_e32 v11, 0x1c0, v10
	s_cselect_b64 s[12:13], -1, 0
	s_mov_b32 s33, 0x3020104
	v_mov_b32_e32 v9, 8
	v_mad_u32_u24 v25, v10, s8, v17
	v_mad_u32_u24 v26, v17, 7, v11
	s_or_b64 s[10:11], s[10:11], s[12:13]
	v_mov_b32_e32 v7, 0
	v_lshlrev_b32_e32 v15, 4, v0
	v_cmp_gt_u32_e64 s[0:1], 4, v0
	v_cmp_lt_u32_e64 s[2:3], 63, v0
	v_cmp_eq_u32_e64 s[6:7], 0, v0
	v_mul_i32_i24_e32 v19, -12, v0
	v_and_b32_e32 v21, 15, v17
	v_and_b32_e32 v22, 16, v17
	v_cmp_lt_u32_e64 s[8:9], 31, v17
	v_and_b32_e32 v18, 64, v17
	v_lshlrev_b32_e32 v16, 2, v10
	v_and_b32_e32 v20, 3, v17
	v_lshlrev_b32_e32 v27, 1, v25
	v_lshlrev_b32_e32 v10, 1, v26
	v_mov_b32_e32 v30, s31
	v_mov_b32_e32 v31, s35
	s_and_b64 vcc, exec, s[10:11]
	s_waitcnt vmcnt(4)
	ds_write_b96 v10, v[3:5]
	s_waitcnt vmcnt(3)
	ds_write_b16 v10, v6 offset:12
	s_waitcnt vmcnt(2)
	v_perm_b32 v29, v8, v8, s33
	s_waitcnt vmcnt(1)
	v_lshrrev_b32_sdwa v28, v9, v24 dst_sel:DWORD dst_unused:UNUSED_PAD src0_sel:DWORD src1_sel:WORD_0
	s_cbranch_vccz .LBB40_25
; %bb.1:
	; wave barrier
	ds_read_u16 v6, v27
	ds_read_u16 v10, v27 offset:128
	ds_read_u16 v11, v27 offset:256
	;; [unrolled: 1-line block ×6, first 2 shown]
	s_waitcnt vmcnt(0) lgkmcnt(0)
	s_barrier
	ds_write_b32 v26, v29
	ds_write_b8 v26, v24 offset:4
	ds_write_b8 v26, v28 offset:5
	;; [unrolled: 1-line block ×3, first 2 shown]
	; wave barrier
	ds_read_u8 v4, v25 offset:256
	ds_read_u8 v5, v25 offset:320
	;; [unrolled: 1-line block ×6, first 2 shown]
	ds_read_u8 v42, v25
	s_waitcnt lgkmcnt(0)
	s_barrier
	s_load_dword s10, s[4:5], 0x24
	s_mov_b32 s31, 0xc0c0004
	s_mov_b32 s35, 0x5040100
	;; [unrolled: 1-line block ×4, first 2 shown]
	s_waitcnt lgkmcnt(0)
	s_lshr_b32 s11, s10, 16
	s_and_b32 s10, s10, 0xffff
	v_mad_u32_u24 v8, v2, s11, v1
	v_mad_u64_u32 v[8:9], s[10:11], v8, s10, v[0:1]
	v_and_b32_e32 v9, 0xc0, v0
	v_or_b32_e32 v32, 63, v9
	v_cmp_eq_u32_e64 s[20:21], v0, v32
	v_subrev_co_u32_e64 v32, s[22:23], 1, v17
	v_lshrrev_b32_e32 v8, 4, v8
	v_cmp_lt_i32_e32 vcc, v32, v18
	v_mad_u32_u24 v34, v9, 7, v17
	v_and_b32_e32 v36, 0xffffffc, v8
	v_perm_b32 v8, v42, v41, s31
	v_perm_b32 v9, v40, v39, s31
	v_cndmask_b32_e32 v32, v32, v17, vcc
	v_lshl_or_b32 v45, v9, 16, v8
	v_perm_b32 v44, v10, v6, s35
	v_perm_b32 v64, v12, v11, s35
	s_mov_b32 s41, s29
	v_mov_b32_e32 v9, s28
	v_mov_b32_e32 v11, s40
	v_cmp_eq_u32_e64 s[10:11], 0, v21
	v_cmp_lt_u32_e64 s[12:13], 1, v21
	v_cmp_lt_u32_e64 s[14:15], 3, v21
	;; [unrolled: 1-line block ×3, first 2 shown]
	v_cmp_eq_u32_e64 s[18:19], 0, v22
	v_lshlrev_b32_e32 v32, 2, v32
	v_cmp_eq_u32_e64 s[24:25], 0, v20
	v_cmp_lt_u32_e64 s[26:27], 1, v20
	v_add_u32_e32 v33, -4, v16
	v_lshlrev_b32_e32 v35, 1, v34
	v_perm_b32 v65, v38, v37, s35
	s_sub_i32 s38, s37, s36
	v_mov_b32_e32 v10, s29
	v_mov_b32_e32 v12, s41
	v_add_u32_e32 v40, v15, v19
	s_branch .LBB40_3
.LBB40_2:                               ;   in Loop: Header=BB40_3 Depth=1
	s_andn2_b64 vcc, exec, s[28:29]
	s_mov_b32 s38, s39
	s_cbranch_vccz .LBB40_26
.LBB40_3:                               ; =>This Inner Loop Header: Depth=1
	s_min_u32 s28, s38, 8
	s_lshl_b32 s28, -1, s28
	v_mov_b32_e32 v41, v3
	s_not_b32 s39, s28
	v_lshrrev_b32_sdwa v3, s36, v44 dst_sel:DWORD dst_unused:UNUSED_PAD src0_sel:DWORD src1_sel:WORD_0
	v_and_b32_e32 v3, s39, v3
	v_mov_b32_e32 v39, v4
	v_and_b32_e32 v4, 1, v3
	v_add_co_u32_e32 v6, vcc, -1, v4
	v_addc_co_u32_e64 v8, s[28:29], 0, -1, vcc
	v_cmp_ne_u32_e32 vcc, 0, v4
	v_xor_b32_e32 v4, vcc_hi, v8
	v_lshlrev_b32_e32 v8, 30, v3
	v_xor_b32_e32 v6, vcc_lo, v6
	v_cmp_gt_i64_e32 vcc, 0, v[7:8]
	v_not_b32_e32 v8, v8
	v_ashrrev_i32_e32 v8, 31, v8
	v_and_b32_e32 v6, exec_lo, v6
	v_xor_b32_e32 v46, vcc_hi, v8
	v_xor_b32_e32 v8, vcc_lo, v8
	v_and_b32_e32 v6, v6, v8
	v_lshlrev_b32_e32 v8, 29, v3
	v_cmp_gt_i64_e32 vcc, 0, v[7:8]
	v_not_b32_e32 v8, v8
	v_and_b32_e32 v4, exec_hi, v4
	v_ashrrev_i32_e32 v8, 31, v8
	v_and_b32_e32 v4, v4, v46
	v_xor_b32_e32 v46, vcc_hi, v8
	v_xor_b32_e32 v8, vcc_lo, v8
	v_and_b32_e32 v6, v6, v8
	v_lshlrev_b32_e32 v8, 28, v3
	v_cmp_gt_i64_e32 vcc, 0, v[7:8]
	v_not_b32_e32 v8, v8
	v_ashrrev_i32_e32 v8, 31, v8
	v_and_b32_e32 v4, v4, v46
	v_xor_b32_e32 v46, vcc_hi, v8
	v_xor_b32_e32 v8, vcc_lo, v8
	v_and_b32_e32 v6, v6, v8
	v_lshlrev_b32_e32 v8, 27, v3
	v_cmp_gt_i64_e32 vcc, 0, v[7:8]
	v_not_b32_e32 v8, v8
	;; [unrolled: 8-line block ×4, first 2 shown]
	v_ashrrev_i32_e32 v8, 31, v8
	v_and_b32_e32 v4, v4, v46
	v_xor_b32_e32 v46, vcc_hi, v8
	v_xor_b32_e32 v8, vcc_lo, v8
	v_and_b32_e32 v6, v6, v8
	v_lshlrev_b32_e32 v8, 24, v3
	v_mov_b32_e32 v38, v5
	v_lshlrev_b32_e32 v5, 4, v3
	v_cmp_gt_i64_e32 vcc, 0, v[7:8]
	v_not_b32_e32 v3, v8
	v_ashrrev_i32_e32 v3, 31, v3
	v_xor_b32_e32 v8, vcc_hi, v3
	v_xor_b32_e32 v3, vcc_lo, v3
	v_and_b32_e32 v4, v4, v46
	v_and_b32_e32 v3, v6, v3
	;; [unrolled: 1-line block ×3, first 2 shown]
	v_mbcnt_lo_u32_b32 v6, v3, 0
	v_mbcnt_hi_u32_b32 v47, v4, v6
	v_cmp_ne_u64_e32 vcc, 0, v[3:4]
	v_cmp_eq_u32_e64 s[28:29], 0, v47
	v_mov_b32_e32 v42, v65
	v_mov_b32_e32 v43, v64
	;; [unrolled: 1-line block ×3, first 2 shown]
	s_and_b64 s[40:41], vcc, s[28:29]
	v_add_u32_e32 v48, v36, v5
	ds_write2_b64 v15, v[9:10], v[11:12] offset0:2 offset1:3
	s_waitcnt lgkmcnt(0)
	s_barrier
	; wave barrier
	s_and_saveexec_b64 s[28:29], s[40:41]
; %bb.4:                                ;   in Loop: Header=BB40_3 Depth=1
	v_bcnt_u32_b32 v3, v3, 0
	v_bcnt_u32_b32 v3, v4, v3
	ds_write_b32 v48, v3 offset:16
; %bb.5:                                ;   in Loop: Header=BB40_3 Depth=1
	s_or_b64 exec, exec, s[28:29]
	v_lshrrev_b32_e32 v46, 16, v44
	v_lshrrev_b32_e32 v3, s36, v46
	v_and_b32_e32 v3, s39, v3
	v_lshlrev_b32_e32 v4, 4, v3
	v_add_u32_e32 v50, v36, v4
	v_and_b32_e32 v4, 1, v3
	v_add_co_u32_e32 v5, vcc, -1, v4
	v_addc_co_u32_e64 v6, s[28:29], 0, -1, vcc
	v_cmp_ne_u32_e32 vcc, 0, v4
	v_lshlrev_b32_e32 v8, 30, v3
	v_xor_b32_e32 v4, vcc_hi, v6
	v_xor_b32_e32 v5, vcc_lo, v5
	v_cmp_gt_i64_e32 vcc, 0, v[7:8]
	v_not_b32_e32 v6, v8
	v_ashrrev_i32_e32 v6, 31, v6
	v_and_b32_e32 v4, exec_hi, v4
	v_xor_b32_e32 v8, vcc_hi, v6
	v_and_b32_e32 v5, exec_lo, v5
	v_xor_b32_e32 v6, vcc_lo, v6
	v_and_b32_e32 v4, v4, v8
	v_lshlrev_b32_e32 v8, 29, v3
	v_and_b32_e32 v5, v5, v6
	v_cmp_gt_i64_e32 vcc, 0, v[7:8]
	v_not_b32_e32 v6, v8
	v_ashrrev_i32_e32 v6, 31, v6
	v_xor_b32_e32 v8, vcc_hi, v6
	v_xor_b32_e32 v6, vcc_lo, v6
	v_and_b32_e32 v4, v4, v8
	v_lshlrev_b32_e32 v8, 28, v3
	v_and_b32_e32 v5, v5, v6
	v_cmp_gt_i64_e32 vcc, 0, v[7:8]
	v_not_b32_e32 v6, v8
	v_ashrrev_i32_e32 v6, 31, v6
	v_xor_b32_e32 v8, vcc_hi, v6
	;; [unrolled: 8-line block ×5, first 2 shown]
	v_and_b32_e32 v4, v4, v8
	v_lshlrev_b32_e32 v8, 24, v3
	v_xor_b32_e32 v6, vcc_lo, v6
	v_cmp_gt_i64_e32 vcc, 0, v[7:8]
	v_not_b32_e32 v3, v8
	v_ashrrev_i32_e32 v3, 31, v3
	v_and_b32_e32 v5, v5, v6
	v_xor_b32_e32 v6, vcc_hi, v3
	v_xor_b32_e32 v3, vcc_lo, v3
	; wave barrier
	ds_read_b32 v49, v50 offset:16
	v_and_b32_e32 v3, v5, v3
	v_and_b32_e32 v4, v4, v6
	v_mbcnt_lo_u32_b32 v5, v3, 0
	v_mbcnt_hi_u32_b32 v51, v4, v5
	v_cmp_ne_u64_e32 vcc, 0, v[3:4]
	v_cmp_eq_u32_e64 s[28:29], 0, v51
	s_and_b64 s[40:41], vcc, s[28:29]
	; wave barrier
	s_and_saveexec_b64 s[28:29], s[40:41]
	s_cbranch_execz .LBB40_7
; %bb.6:                                ;   in Loop: Header=BB40_3 Depth=1
	v_bcnt_u32_b32 v3, v3, 0
	v_bcnt_u32_b32 v3, v4, v3
	s_waitcnt lgkmcnt(0)
	v_add_u32_e32 v3, v49, v3
	ds_write_b32 v50, v3 offset:16
.LBB40_7:                               ;   in Loop: Header=BB40_3 Depth=1
	s_or_b64 exec, exec, s[28:29]
	v_lshrrev_b32_sdwa v3, s36, v43 dst_sel:DWORD dst_unused:UNUSED_PAD src0_sel:DWORD src1_sel:WORD_0
	v_and_b32_e32 v3, s39, v3
	v_lshlrev_b32_e32 v4, 4, v3
	v_add_u32_e32 v54, v36, v4
	v_and_b32_e32 v4, 1, v3
	v_add_co_u32_e32 v5, vcc, -1, v4
	v_addc_co_u32_e64 v6, s[28:29], 0, -1, vcc
	v_cmp_ne_u32_e32 vcc, 0, v4
	v_lshlrev_b32_e32 v8, 30, v3
	v_xor_b32_e32 v4, vcc_hi, v6
	v_xor_b32_e32 v5, vcc_lo, v5
	v_cmp_gt_i64_e32 vcc, 0, v[7:8]
	v_not_b32_e32 v6, v8
	v_ashrrev_i32_e32 v6, 31, v6
	v_and_b32_e32 v4, exec_hi, v4
	v_xor_b32_e32 v8, vcc_hi, v6
	v_and_b32_e32 v5, exec_lo, v5
	v_xor_b32_e32 v6, vcc_lo, v6
	v_and_b32_e32 v4, v4, v8
	v_lshlrev_b32_e32 v8, 29, v3
	v_and_b32_e32 v5, v5, v6
	v_cmp_gt_i64_e32 vcc, 0, v[7:8]
	v_not_b32_e32 v6, v8
	v_ashrrev_i32_e32 v6, 31, v6
	v_xor_b32_e32 v8, vcc_hi, v6
	v_xor_b32_e32 v6, vcc_lo, v6
	v_and_b32_e32 v4, v4, v8
	v_lshlrev_b32_e32 v8, 28, v3
	v_and_b32_e32 v5, v5, v6
	v_cmp_gt_i64_e32 vcc, 0, v[7:8]
	v_not_b32_e32 v6, v8
	v_ashrrev_i32_e32 v6, 31, v6
	v_xor_b32_e32 v8, vcc_hi, v6
	;; [unrolled: 8-line block ×5, first 2 shown]
	v_and_b32_e32 v4, v4, v8
	v_lshlrev_b32_e32 v8, 24, v3
	v_xor_b32_e32 v6, vcc_lo, v6
	v_cmp_gt_i64_e32 vcc, 0, v[7:8]
	v_not_b32_e32 v3, v8
	v_ashrrev_i32_e32 v3, 31, v3
	v_and_b32_e32 v5, v5, v6
	v_xor_b32_e32 v6, vcc_hi, v3
	v_xor_b32_e32 v3, vcc_lo, v3
	; wave barrier
	ds_read_b32 v53, v54 offset:16
	v_and_b32_e32 v3, v5, v3
	v_and_b32_e32 v4, v4, v6
	v_mbcnt_lo_u32_b32 v5, v3, 0
	v_mbcnt_hi_u32_b32 v55, v4, v5
	v_cmp_ne_u64_e32 vcc, 0, v[3:4]
	v_cmp_eq_u32_e64 s[28:29], 0, v55
	s_and_b64 s[40:41], vcc, s[28:29]
	; wave barrier
	s_and_saveexec_b64 s[28:29], s[40:41]
	s_cbranch_execz .LBB40_9
; %bb.8:                                ;   in Loop: Header=BB40_3 Depth=1
	v_bcnt_u32_b32 v3, v3, 0
	v_bcnt_u32_b32 v3, v4, v3
	s_waitcnt lgkmcnt(0)
	v_add_u32_e32 v3, v53, v3
	ds_write_b32 v54, v3 offset:16
.LBB40_9:                               ;   in Loop: Header=BB40_3 Depth=1
	s_or_b64 exec, exec, s[28:29]
	v_lshrrev_b32_e32 v52, 16, v43
	v_lshrrev_b32_e32 v3, s36, v52
	v_and_b32_e32 v3, s39, v3
	v_lshlrev_b32_e32 v4, 4, v3
	v_add_u32_e32 v57, v36, v4
	v_and_b32_e32 v4, 1, v3
	v_add_co_u32_e32 v5, vcc, -1, v4
	v_addc_co_u32_e64 v6, s[28:29], 0, -1, vcc
	v_cmp_ne_u32_e32 vcc, 0, v4
	v_lshlrev_b32_e32 v8, 30, v3
	v_xor_b32_e32 v4, vcc_hi, v6
	v_xor_b32_e32 v5, vcc_lo, v5
	v_cmp_gt_i64_e32 vcc, 0, v[7:8]
	v_not_b32_e32 v6, v8
	v_ashrrev_i32_e32 v6, 31, v6
	v_and_b32_e32 v4, exec_hi, v4
	v_xor_b32_e32 v8, vcc_hi, v6
	v_and_b32_e32 v5, exec_lo, v5
	v_xor_b32_e32 v6, vcc_lo, v6
	v_and_b32_e32 v4, v4, v8
	v_lshlrev_b32_e32 v8, 29, v3
	v_and_b32_e32 v5, v5, v6
	v_cmp_gt_i64_e32 vcc, 0, v[7:8]
	v_not_b32_e32 v6, v8
	v_ashrrev_i32_e32 v6, 31, v6
	v_xor_b32_e32 v8, vcc_hi, v6
	v_xor_b32_e32 v6, vcc_lo, v6
	v_and_b32_e32 v4, v4, v8
	v_lshlrev_b32_e32 v8, 28, v3
	v_and_b32_e32 v5, v5, v6
	v_cmp_gt_i64_e32 vcc, 0, v[7:8]
	v_not_b32_e32 v6, v8
	v_ashrrev_i32_e32 v6, 31, v6
	v_xor_b32_e32 v8, vcc_hi, v6
	;; [unrolled: 8-line block ×5, first 2 shown]
	v_and_b32_e32 v4, v4, v8
	v_lshlrev_b32_e32 v8, 24, v3
	v_xor_b32_e32 v6, vcc_lo, v6
	v_cmp_gt_i64_e32 vcc, 0, v[7:8]
	v_not_b32_e32 v3, v8
	v_ashrrev_i32_e32 v3, 31, v3
	v_and_b32_e32 v5, v5, v6
	v_xor_b32_e32 v6, vcc_hi, v3
	v_xor_b32_e32 v3, vcc_lo, v3
	; wave barrier
	ds_read_b32 v56, v57 offset:16
	v_and_b32_e32 v3, v5, v3
	v_and_b32_e32 v4, v4, v6
	v_mbcnt_lo_u32_b32 v5, v3, 0
	v_mbcnt_hi_u32_b32 v58, v4, v5
	v_cmp_ne_u64_e32 vcc, 0, v[3:4]
	v_cmp_eq_u32_e64 s[28:29], 0, v58
	s_and_b64 s[40:41], vcc, s[28:29]
	; wave barrier
	s_and_saveexec_b64 s[28:29], s[40:41]
	s_cbranch_execz .LBB40_11
; %bb.10:                               ;   in Loop: Header=BB40_3 Depth=1
	v_bcnt_u32_b32 v3, v3, 0
	v_bcnt_u32_b32 v3, v4, v3
	s_waitcnt lgkmcnt(0)
	v_add_u32_e32 v3, v56, v3
	ds_write_b32 v57, v3 offset:16
.LBB40_11:                              ;   in Loop: Header=BB40_3 Depth=1
	s_or_b64 exec, exec, s[28:29]
	v_lshrrev_b32_sdwa v3, s36, v42 dst_sel:DWORD dst_unused:UNUSED_PAD src0_sel:DWORD src1_sel:WORD_0
	v_and_b32_e32 v3, s39, v3
	v_lshlrev_b32_e32 v4, 4, v3
	v_add_u32_e32 v61, v36, v4
	v_and_b32_e32 v4, 1, v3
	v_add_co_u32_e32 v5, vcc, -1, v4
	v_addc_co_u32_e64 v6, s[28:29], 0, -1, vcc
	v_cmp_ne_u32_e32 vcc, 0, v4
	v_lshlrev_b32_e32 v8, 30, v3
	v_xor_b32_e32 v4, vcc_hi, v6
	v_xor_b32_e32 v5, vcc_lo, v5
	v_cmp_gt_i64_e32 vcc, 0, v[7:8]
	v_not_b32_e32 v6, v8
	v_ashrrev_i32_e32 v6, 31, v6
	v_and_b32_e32 v4, exec_hi, v4
	v_xor_b32_e32 v8, vcc_hi, v6
	v_and_b32_e32 v5, exec_lo, v5
	v_xor_b32_e32 v6, vcc_lo, v6
	v_and_b32_e32 v4, v4, v8
	v_lshlrev_b32_e32 v8, 29, v3
	v_and_b32_e32 v5, v5, v6
	v_cmp_gt_i64_e32 vcc, 0, v[7:8]
	v_not_b32_e32 v6, v8
	v_ashrrev_i32_e32 v6, 31, v6
	v_xor_b32_e32 v8, vcc_hi, v6
	v_xor_b32_e32 v6, vcc_lo, v6
	v_and_b32_e32 v4, v4, v8
	v_lshlrev_b32_e32 v8, 28, v3
	v_and_b32_e32 v5, v5, v6
	v_cmp_gt_i64_e32 vcc, 0, v[7:8]
	v_not_b32_e32 v6, v8
	v_ashrrev_i32_e32 v6, 31, v6
	v_xor_b32_e32 v8, vcc_hi, v6
	;; [unrolled: 8-line block ×5, first 2 shown]
	v_and_b32_e32 v4, v4, v8
	v_lshlrev_b32_e32 v8, 24, v3
	v_xor_b32_e32 v6, vcc_lo, v6
	v_cmp_gt_i64_e32 vcc, 0, v[7:8]
	v_not_b32_e32 v3, v8
	v_ashrrev_i32_e32 v3, 31, v3
	v_and_b32_e32 v5, v5, v6
	v_xor_b32_e32 v6, vcc_hi, v3
	v_xor_b32_e32 v3, vcc_lo, v3
	; wave barrier
	ds_read_b32 v60, v61 offset:16
	v_and_b32_e32 v3, v5, v3
	v_and_b32_e32 v4, v4, v6
	v_mbcnt_lo_u32_b32 v5, v3, 0
	v_mbcnt_hi_u32_b32 v62, v4, v5
	v_cmp_ne_u64_e32 vcc, 0, v[3:4]
	v_cmp_eq_u32_e64 s[28:29], 0, v62
	s_and_b64 s[40:41], vcc, s[28:29]
	; wave barrier
	s_and_saveexec_b64 s[28:29], s[40:41]
	s_cbranch_execz .LBB40_13
; %bb.12:                               ;   in Loop: Header=BB40_3 Depth=1
	v_bcnt_u32_b32 v3, v3, 0
	v_bcnt_u32_b32 v3, v4, v3
	s_waitcnt lgkmcnt(0)
	v_add_u32_e32 v3, v60, v3
	ds_write_b32 v61, v3 offset:16
.LBB40_13:                              ;   in Loop: Header=BB40_3 Depth=1
	s_or_b64 exec, exec, s[28:29]
	v_lshrrev_b32_e32 v59, 16, v42
	v_lshrrev_b32_e32 v3, s36, v59
	v_and_b32_e32 v3, s39, v3
	v_lshlrev_b32_e32 v4, 4, v3
	v_add_u32_e32 v64, v36, v4
	v_and_b32_e32 v4, 1, v3
	v_add_co_u32_e32 v5, vcc, -1, v4
	v_addc_co_u32_e64 v6, s[28:29], 0, -1, vcc
	v_cmp_ne_u32_e32 vcc, 0, v4
	v_lshlrev_b32_e32 v8, 30, v3
	v_xor_b32_e32 v4, vcc_hi, v6
	v_xor_b32_e32 v5, vcc_lo, v5
	v_cmp_gt_i64_e32 vcc, 0, v[7:8]
	v_not_b32_e32 v6, v8
	v_ashrrev_i32_e32 v6, 31, v6
	v_and_b32_e32 v4, exec_hi, v4
	v_xor_b32_e32 v8, vcc_hi, v6
	v_and_b32_e32 v5, exec_lo, v5
	v_xor_b32_e32 v6, vcc_lo, v6
	v_and_b32_e32 v4, v4, v8
	v_lshlrev_b32_e32 v8, 29, v3
	v_and_b32_e32 v5, v5, v6
	v_cmp_gt_i64_e32 vcc, 0, v[7:8]
	v_not_b32_e32 v6, v8
	v_ashrrev_i32_e32 v6, 31, v6
	v_xor_b32_e32 v8, vcc_hi, v6
	v_xor_b32_e32 v6, vcc_lo, v6
	v_and_b32_e32 v4, v4, v8
	v_lshlrev_b32_e32 v8, 28, v3
	v_and_b32_e32 v5, v5, v6
	v_cmp_gt_i64_e32 vcc, 0, v[7:8]
	v_not_b32_e32 v6, v8
	v_ashrrev_i32_e32 v6, 31, v6
	v_xor_b32_e32 v8, vcc_hi, v6
	;; [unrolled: 8-line block ×5, first 2 shown]
	v_and_b32_e32 v4, v4, v8
	v_lshlrev_b32_e32 v8, 24, v3
	v_xor_b32_e32 v6, vcc_lo, v6
	v_cmp_gt_i64_e32 vcc, 0, v[7:8]
	v_not_b32_e32 v3, v8
	v_ashrrev_i32_e32 v3, 31, v3
	v_and_b32_e32 v5, v5, v6
	v_xor_b32_e32 v6, vcc_hi, v3
	v_xor_b32_e32 v3, vcc_lo, v3
	; wave barrier
	ds_read_b32 v63, v64 offset:16
	v_and_b32_e32 v3, v5, v3
	v_and_b32_e32 v4, v4, v6
	v_mbcnt_lo_u32_b32 v5, v3, 0
	v_mbcnt_hi_u32_b32 v65, v4, v5
	v_cmp_ne_u64_e32 vcc, 0, v[3:4]
	v_cmp_eq_u32_e64 s[28:29], 0, v65
	s_and_b64 s[40:41], vcc, s[28:29]
	; wave barrier
	s_and_saveexec_b64 s[28:29], s[40:41]
	s_cbranch_execz .LBB40_15
; %bb.14:                               ;   in Loop: Header=BB40_3 Depth=1
	v_bcnt_u32_b32 v3, v3, 0
	v_bcnt_u32_b32 v3, v4, v3
	s_waitcnt lgkmcnt(0)
	v_add_u32_e32 v3, v63, v3
	ds_write_b32 v64, v3 offset:16
.LBB40_15:                              ;   in Loop: Header=BB40_3 Depth=1
	s_or_b64 exec, exec, s[28:29]
	v_lshrrev_b32_sdwa v3, s36, v41 dst_sel:DWORD dst_unused:UNUSED_PAD src0_sel:DWORD src1_sel:WORD_0
	v_and_b32_e32 v3, s39, v3
	v_lshlrev_b32_e32 v4, 4, v3
	v_add_u32_e32 v67, v36, v4
	v_and_b32_e32 v4, 1, v3
	v_add_co_u32_e32 v5, vcc, -1, v4
	v_addc_co_u32_e64 v6, s[28:29], 0, -1, vcc
	v_cmp_ne_u32_e32 vcc, 0, v4
	v_lshlrev_b32_e32 v8, 30, v3
	v_xor_b32_e32 v4, vcc_hi, v6
	v_xor_b32_e32 v5, vcc_lo, v5
	v_cmp_gt_i64_e32 vcc, 0, v[7:8]
	v_not_b32_e32 v6, v8
	v_ashrrev_i32_e32 v6, 31, v6
	v_and_b32_e32 v4, exec_hi, v4
	v_xor_b32_e32 v8, vcc_hi, v6
	v_and_b32_e32 v5, exec_lo, v5
	v_xor_b32_e32 v6, vcc_lo, v6
	v_and_b32_e32 v4, v4, v8
	v_lshlrev_b32_e32 v8, 29, v3
	v_and_b32_e32 v5, v5, v6
	v_cmp_gt_i64_e32 vcc, 0, v[7:8]
	v_not_b32_e32 v6, v8
	v_ashrrev_i32_e32 v6, 31, v6
	v_xor_b32_e32 v8, vcc_hi, v6
	v_xor_b32_e32 v6, vcc_lo, v6
	v_and_b32_e32 v4, v4, v8
	v_lshlrev_b32_e32 v8, 28, v3
	v_and_b32_e32 v5, v5, v6
	v_cmp_gt_i64_e32 vcc, 0, v[7:8]
	v_not_b32_e32 v6, v8
	v_ashrrev_i32_e32 v6, 31, v6
	v_xor_b32_e32 v8, vcc_hi, v6
	;; [unrolled: 8-line block ×5, first 2 shown]
	v_and_b32_e32 v4, v4, v8
	v_lshlrev_b32_e32 v8, 24, v3
	v_xor_b32_e32 v6, vcc_lo, v6
	v_cmp_gt_i64_e32 vcc, 0, v[7:8]
	v_not_b32_e32 v3, v8
	v_ashrrev_i32_e32 v3, 31, v3
	v_and_b32_e32 v5, v5, v6
	v_xor_b32_e32 v6, vcc_hi, v3
	v_xor_b32_e32 v3, vcc_lo, v3
	; wave barrier
	ds_read_b32 v66, v67 offset:16
	v_and_b32_e32 v3, v5, v3
	v_and_b32_e32 v4, v4, v6
	v_mbcnt_lo_u32_b32 v5, v3, 0
	v_mbcnt_hi_u32_b32 v68, v4, v5
	v_cmp_ne_u64_e32 vcc, 0, v[3:4]
	v_cmp_eq_u32_e64 s[28:29], 0, v68
	s_and_b64 s[40:41], vcc, s[28:29]
	; wave barrier
	s_and_saveexec_b64 s[28:29], s[40:41]
	s_cbranch_execz .LBB40_17
; %bb.16:                               ;   in Loop: Header=BB40_3 Depth=1
	v_bcnt_u32_b32 v3, v3, 0
	v_bcnt_u32_b32 v3, v4, v3
	s_waitcnt lgkmcnt(0)
	v_add_u32_e32 v3, v66, v3
	ds_write_b32 v67, v3 offset:16
.LBB40_17:                              ;   in Loop: Header=BB40_3 Depth=1
	s_or_b64 exec, exec, s[28:29]
	; wave barrier
	s_waitcnt lgkmcnt(0)
	s_barrier
	ds_read2_b64 v[3:6], v15 offset0:2 offset1:3
	s_waitcnt lgkmcnt(0)
	v_add_u32_e32 v8, v4, v3
	v_add3_u32 v6, v8, v5, v6
	s_nop 1
	v_mov_b32_dpp v8, v6 row_shr:1 row_mask:0xf bank_mask:0xf
	v_cndmask_b32_e64 v8, v8, 0, s[10:11]
	v_add_u32_e32 v6, v8, v6
	s_nop 1
	v_mov_b32_dpp v8, v6 row_shr:2 row_mask:0xf bank_mask:0xf
	v_cndmask_b32_e64 v8, 0, v8, s[12:13]
	v_add_u32_e32 v6, v6, v8
	;; [unrolled: 4-line block ×4, first 2 shown]
	s_nop 1
	v_mov_b32_dpp v8, v6 row_bcast:15 row_mask:0xf bank_mask:0xf
	v_cndmask_b32_e64 v8, v8, 0, s[18:19]
	v_add_u32_e32 v6, v6, v8
	s_nop 1
	v_mov_b32_dpp v8, v6 row_bcast:31 row_mask:0xf bank_mask:0xf
	v_cndmask_b32_e64 v8, 0, v8, s[8:9]
	v_add_u32_e32 v6, v6, v8
	s_and_saveexec_b64 s[28:29], s[20:21]
; %bb.18:                               ;   in Loop: Header=BB40_3 Depth=1
	ds_write_b32 v16, v6
; %bb.19:                               ;   in Loop: Header=BB40_3 Depth=1
	s_or_b64 exec, exec, s[28:29]
	s_waitcnt lgkmcnt(0)
	s_barrier
	s_and_saveexec_b64 s[28:29], s[0:1]
	s_cbranch_execz .LBB40_21
; %bb.20:                               ;   in Loop: Header=BB40_3 Depth=1
	ds_read_b32 v8, v40
	s_waitcnt lgkmcnt(0)
	s_nop 0
	v_mov_b32_dpp v69, v8 row_shr:1 row_mask:0xf bank_mask:0xf
	v_cndmask_b32_e64 v69, v69, 0, s[24:25]
	v_add_u32_e32 v8, v69, v8
	s_nop 1
	v_mov_b32_dpp v69, v8 row_shr:2 row_mask:0xf bank_mask:0xf
	v_cndmask_b32_e64 v69, 0, v69, s[26:27]
	v_add_u32_e32 v8, v8, v69
	ds_write_b32 v40, v8
.LBB40_21:                              ;   in Loop: Header=BB40_3 Depth=1
	s_or_b64 exec, exec, s[28:29]
	v_mov_b32_e32 v69, 0
	s_waitcnt lgkmcnt(0)
	s_barrier
	s_and_saveexec_b64 s[28:29], s[2:3]
; %bb.22:                               ;   in Loop: Header=BB40_3 Depth=1
	ds_read_b32 v69, v33
; %bb.23:                               ;   in Loop: Header=BB40_3 Depth=1
	s_or_b64 exec, exec, s[28:29]
	s_waitcnt lgkmcnt(0)
	v_add_u32_e32 v6, v69, v6
	ds_bpermute_b32 v70, v32, v6
	v_perm_b32 v6, v45, v45, s33
	s_add_i32 s36, s36, 8
	v_mov_b32_e32 v8, v44
	s_cmp_ge_u32 s36, s37
	s_waitcnt lgkmcnt(0)
	v_cndmask_b32_e64 v45, v70, v69, s[22:23]
	v_cndmask_b32_e64 v69, v45, 0, s[6:7]
	v_add_u32_e32 v70, v69, v3
	v_add_u32_e32 v3, v70, v4
	;; [unrolled: 1-line block ×3, first 2 shown]
	ds_write2_b64 v15, v[69:70], v[3:4] offset0:2 offset1:3
	s_waitcnt lgkmcnt(0)
	s_barrier
	ds_read_b32 v3, v48 offset:16
	ds_read_b32 v4, v50 offset:16
	;; [unrolled: 1-line block ×7, first 2 shown]
	s_waitcnt lgkmcnt(6)
	v_add_u32_e32 v54, v3, v47
	s_waitcnt lgkmcnt(5)
	v_add3_u32 v51, v51, v49, v4
	s_waitcnt lgkmcnt(4)
	v_add3_u32 v53, v55, v53, v5
	;; [unrolled: 2-line block ×6, first 2 shown]
	v_lshlrev_b32_e32 v56, 1, v54
	v_lshlrev_b32_e32 v57, 1, v51
	v_lshlrev_b32_e32 v58, 1, v53
	v_lshlrev_b32_e32 v60, 1, v47
	v_lshlrev_b32_e32 v61, 1, v48
	v_lshlrev_b32_e32 v62, 1, v49
	v_lshlrev_b32_e32 v63, 1, v50
	s_mov_b64 s[28:29], -1
	v_readfirstlane_b32 s39, v0
                                        ; implicit-def: $vgpr3
                                        ; implicit-def: $vgpr65
                                        ; implicit-def: $vgpr64
                                        ; implicit-def: $vgpr55
                                        ; implicit-def: $vgpr5
                                        ; implicit-def: $vgpr4
                                        ; implicit-def: $vgpr45
	s_cbranch_scc1 .LBB40_2
; %bb.24:                               ;   in Loop: Header=BB40_3 Depth=1
	v_lshrrev_b32_e32 v4, 8, v6
	s_barrier
	ds_write_b16 v56, v44
	ds_write_b16 v57, v46
	;; [unrolled: 1-line block ×7, first 2 shown]
	s_waitcnt lgkmcnt(0)
	s_barrier
	ds_read_u16 v44, v35
	ds_read_u16 v64, v35 offset:128
	ds_read_u16 v65, v35 offset:256
	;; [unrolled: 1-line block ×6, first 2 shown]
	s_waitcnt lgkmcnt(0)
	s_barrier
	ds_write_b8 v54, v6
	ds_write_b8 v51, v4
	ds_write_b8_d16_hi v53, v6
	v_lshrrev_b32_e32 v4, 24, v6
	ds_write_b8 v47, v4
	ds_write_b8 v48, v39
	;; [unrolled: 1-line block ×4, first 2 shown]
	s_waitcnt lgkmcnt(0)
	s_barrier
	ds_read_u8 v4, v34 offset:256
	ds_read_u8 v5, v34 offset:320
	;; [unrolled: 1-line block ×5, first 2 shown]
	ds_read_u8 v70, v34
	ds_read_u8 v71, v34 offset:128
	v_perm_b32 v44, v64, v44, s35
	v_perm_b32 v64, v66, v65, s35
	;; [unrolled: 1-line block ×3, first 2 shown]
	s_waitcnt lgkmcnt(1)
	v_perm_b32 v69, v70, v69, s31
	s_waitcnt lgkmcnt(0)
	v_perm_b32 v45, v71, v45, s31
	v_lshl_or_b32 v45, v45, 16, v69
	s_add_i32 s39, s38, -8
	s_mov_b64 s[28:29], 0
	s_barrier
	s_branch .LBB40_2
.LBB40_25:
	s_mov_b64 s[0:1], -1
                                        ; implicit-def: $vgpr10
                                        ; implicit-def: $vgpr5
	s_branch .LBB40_27
.LBB40_26:
	s_barrier
	ds_write_b16 v56, v8
	ds_write_b16 v57, v46
	;; [unrolled: 1-line block ×7, first 2 shown]
	s_waitcnt lgkmcnt(0)
	s_barrier
	ds_read_b96 v[3:5], v14
	ds_read_u16 v10, v14 offset:12
	v_lshrrev_b32_e32 v7, 8, v6
	s_waitcnt lgkmcnt(0)
	s_barrier
	ds_write_b8 v54, v6
	ds_write_b8 v51, v7
	ds_write_b8_d16_hi v53, v6
	v_lshrrev_b32_e32 v6, 24, v6
	s_mov_b64 s[0:1], 0
	ds_write_b8 v47, v6
	ds_write_b8 v48, v39
	;; [unrolled: 1-line block ×4, first 2 shown]
	s_waitcnt lgkmcnt(0)
	s_barrier
.LBB40_27:
	v_add_co_u32_e32 v8, vcc, s30, v14
	v_addc_co_u32_e32 v9, vcc, 0, v30, vcc
	v_add_co_u32_e32 v6, vcc, s34, v13
	v_addc_co_u32_e32 v7, vcc, 0, v31, vcc
	s_and_b64 vcc, exec, s[0:1]
	s_cbranch_vccz .LBB40_69
; %bb.28:
	s_mov_b32 s0, 0
	s_mov_b32 s1, s0
	;; [unrolled: 1-line block ×3, first 2 shown]
	; wave barrier
	ds_read_u16 v35, v27
	ds_read_u16 v34, v27 offset:128
	ds_read_u16 v33, v27 offset:256
	;; [unrolled: 1-line block ×6, first 2 shown]
	s_waitcnt vmcnt(0) lgkmcnt(0)
	s_barrier
	ds_write_b32 v26, v29
	ds_write_b8 v26, v24 offset:4
	ds_write_b8 v26, v28 offset:5
	;; [unrolled: 1-line block ×3, first 2 shown]
	s_mov_b32 s2, s0
	v_mov_b32_e32 v4, s1
	v_mov_b32_e32 v29, s3
	;; [unrolled: 1-line block ×4, first 2 shown]
	s_mov_b32 s2, 0xffff
	; wave barrier
	ds_read_u8 v5, v25
	ds_read_u8 v11, v25 offset:64
	ds_read_u8 v12, v25 offset:128
	;; [unrolled: 1-line block ×6, first 2 shown]
	s_waitcnt lgkmcnt(0)
	s_barrier
	ds_write2_b64 v15, v[3:4], v[28:29] offset0:2 offset1:3
	v_and_b32_e32 v3, 1, v35
	v_and_b32_sdwa v36, s2, v35 dst_sel:DWORD dst_unused:UNUSED_PAD src0_sel:DWORD src1_sel:BYTE_0
	v_cmp_ne_u32_e32 vcc, 0, v3
	v_and_b32_e32 v3, 1, v36
	v_add_co_u32_e64 v10, s[0:1], -1, v3
	v_addc_co_u32_e64 v3, s[0:1], 0, -1, s[0:1]
	v_xor_b32_e32 v3, vcc_hi, v3
	v_and_b32_e32 v28, exec_hi, v3
	v_mov_b32_e32 v3, 0
	v_lshlrev_b32_e32 v4, 30, v36
	v_cmp_gt_i64_e64 s[0:1], 0, v[3:4]
	v_not_b32_e32 v4, v4
	v_ashrrev_i32_e32 v4, 31, v4
	v_xor_b32_e32 v10, vcc_lo, v10
	v_xor_b32_e32 v29, s1, v4
	v_and_b32_e32 v10, exec_lo, v10
	v_xor_b32_e32 v4, s0, v4
	v_and_b32_e32 v10, v10, v4
	v_lshlrev_b32_e32 v4, 29, v36
	v_cmp_gt_i64_e32 vcc, 0, v[3:4]
	v_not_b32_e32 v4, v4
	v_ashrrev_i32_e32 v4, 31, v4
	v_and_b32_e32 v28, v28, v29
	v_xor_b32_e32 v29, vcc_hi, v4
	v_xor_b32_e32 v4, vcc_lo, v4
	v_and_b32_e32 v10, v10, v4
	v_lshlrev_b32_e32 v4, 28, v36
	v_cmp_gt_i64_e32 vcc, 0, v[3:4]
	v_not_b32_e32 v4, v4
	v_ashrrev_i32_e32 v4, 31, v4
	v_and_b32_e32 v28, v28, v29
	v_xor_b32_e32 v29, vcc_hi, v4
	v_xor_b32_e32 v4, vcc_lo, v4
	;; [unrolled: 8-line block ×3, first 2 shown]
	v_and_b32_e32 v10, v10, v4
	v_lshlrev_b32_e32 v4, 26, v36
	v_cmp_gt_i64_e32 vcc, 0, v[3:4]
	v_not_b32_e32 v4, v4
	v_ashrrev_i32_e32 v4, 31, v4
	s_load_dword s0, s[4:5], 0x24
	v_and_b32_e32 v28, v28, v29
	v_xor_b32_e32 v29, vcc_hi, v4
	v_xor_b32_e32 v4, vcc_lo, v4
	v_and_b32_e32 v10, v10, v4
	v_lshlrev_b32_e32 v4, 25, v36
	v_cmp_gt_i64_e32 vcc, 0, v[3:4]
	v_not_b32_e32 v4, v4
	v_ashrrev_i32_e32 v4, 31, v4
	v_and_b32_e32 v28, v28, v29
	v_xor_b32_e32 v29, vcc_hi, v4
	v_xor_b32_e32 v4, vcc_lo, v4
	s_waitcnt lgkmcnt(0)
	s_lshr_b32 s1, s0, 16
	v_and_b32_e32 v10, v10, v4
	v_lshlrev_b32_e32 v4, 24, v35
	v_mad_u32_u24 v1, v2, s1, v1
	s_and_b32 s0, s0, 0xffff
	v_and_b32_e32 v37, v28, v29
	v_cmp_gt_i64_e32 vcc, 0, v[3:4]
	v_not_b32_e32 v4, v4
	v_mad_u64_u32 v[28:29], s[0:1], v1, s0, v[0:1]
	v_ashrrev_i32_e32 v4, 31, v4
	v_xor_b32_e32 v1, vcc_lo, v4
	v_xor_b32_e32 v38, vcc_hi, v4
	v_and_b32_e32 v1, v10, v1
	v_and_b32_e32 v2, v37, v38
	v_lshrrev_b32_e32 v4, 4, v28
	v_mbcnt_lo_u32_b32 v28, v1, 0
	v_mbcnt_hi_u32_b32 v28, v2, v28
	v_cmp_ne_u64_e32 vcc, 0, v[1:2]
	v_and_b32_e32 v10, 0xffffffc, v4
	v_lshlrev_b32_e32 v4, 4, v36
	v_cmp_eq_u32_e64 s[0:1], 0, v28
	s_and_b64 s[4:5], vcc, s[0:1]
	v_add_u32_e32 v29, v10, v4
	s_barrier
	; wave barrier
	s_and_saveexec_b64 s[0:1], s[4:5]
; %bb.29:
	v_bcnt_u32_b32 v1, v1, 0
	v_bcnt_u32_b32 v1, v2, v1
	ds_write_b32 v29, v1 offset:16
; %bb.30:
	s_or_b64 exec, exec, s[0:1]
	v_and_b32_sdwa v1, s2, v34 dst_sel:DWORD dst_unused:UNUSED_PAD src0_sel:DWORD src1_sel:BYTE_0
	v_lshlrev_b32_e32 v2, 4, v1
	v_add_u32_e32 v37, v10, v2
	v_and_b32_e32 v2, 1, v1
	v_add_co_u32_e32 v2, vcc, -1, v2
	v_and_b32_e32 v38, 1, v34
	v_addc_co_u32_e64 v4, s[0:1], 0, -1, vcc
	v_cmp_ne_u32_e32 vcc, 0, v38
	v_xor_b32_e32 v4, vcc_hi, v4
	v_and_b32_e32 v38, exec_hi, v4
	v_lshlrev_b32_e32 v4, 30, v1
	v_xor_b32_e32 v2, vcc_lo, v2
	v_cmp_gt_i64_e32 vcc, 0, v[3:4]
	v_not_b32_e32 v4, v4
	v_ashrrev_i32_e32 v4, 31, v4
	v_and_b32_e32 v2, exec_lo, v2
	v_xor_b32_e32 v39, vcc_hi, v4
	v_xor_b32_e32 v4, vcc_lo, v4
	v_and_b32_e32 v2, v2, v4
	v_lshlrev_b32_e32 v4, 29, v1
	v_cmp_gt_i64_e32 vcc, 0, v[3:4]
	v_not_b32_e32 v4, v4
	v_ashrrev_i32_e32 v4, 31, v4
	v_and_b32_e32 v38, v38, v39
	v_xor_b32_e32 v39, vcc_hi, v4
	v_xor_b32_e32 v4, vcc_lo, v4
	v_and_b32_e32 v2, v2, v4
	v_lshlrev_b32_e32 v4, 28, v1
	v_cmp_gt_i64_e32 vcc, 0, v[3:4]
	v_not_b32_e32 v4, v4
	v_ashrrev_i32_e32 v4, 31, v4
	v_and_b32_e32 v38, v38, v39
	v_xor_b32_e32 v39, vcc_hi, v4
	v_xor_b32_e32 v4, vcc_lo, v4
	v_and_b32_e32 v2, v2, v4
	v_lshlrev_b32_e32 v4, 27, v1
	v_cmp_gt_i64_e32 vcc, 0, v[3:4]
	v_not_b32_e32 v4, v4
	v_ashrrev_i32_e32 v4, 31, v4
	v_and_b32_e32 v38, v38, v39
	v_xor_b32_e32 v39, vcc_hi, v4
	v_xor_b32_e32 v4, vcc_lo, v4
	v_and_b32_e32 v2, v2, v4
	v_lshlrev_b32_e32 v4, 26, v1
	v_cmp_gt_i64_e32 vcc, 0, v[3:4]
	v_not_b32_e32 v4, v4
	v_ashrrev_i32_e32 v4, 31, v4
	v_and_b32_e32 v38, v38, v39
	v_xor_b32_e32 v39, vcc_hi, v4
	v_xor_b32_e32 v4, vcc_lo, v4
	v_and_b32_e32 v2, v2, v4
	v_lshlrev_b32_e32 v4, 25, v1
	v_cmp_gt_i64_e32 vcc, 0, v[3:4]
	v_not_b32_e32 v1, v4
	v_ashrrev_i32_e32 v1, 31, v1
	v_and_b32_e32 v38, v38, v39
	v_xor_b32_e32 v4, vcc_hi, v1
	v_xor_b32_e32 v1, vcc_lo, v1
	v_and_b32_e32 v38, v38, v4
	v_lshlrev_b32_e32 v4, 24, v34
	v_and_b32_e32 v1, v2, v1
	v_cmp_gt_i64_e32 vcc, 0, v[3:4]
	v_not_b32_e32 v2, v4
	v_ashrrev_i32_e32 v2, 31, v2
	v_xor_b32_e32 v4, vcc_lo, v2
	; wave barrier
	ds_read_b32 v36, v37 offset:16
	v_xor_b32_e32 v3, vcc_hi, v2
	v_and_b32_e32 v1, v1, v4
	v_and_b32_e32 v2, v38, v3
	v_mbcnt_lo_u32_b32 v3, v1, 0
	v_mbcnt_hi_u32_b32 v38, v2, v3
	v_cmp_ne_u64_e32 vcc, 0, v[1:2]
	v_cmp_eq_u32_e64 s[0:1], 0, v38
	s_and_b64 s[2:3], vcc, s[0:1]
	; wave barrier
	s_and_saveexec_b64 s[0:1], s[2:3]
	s_cbranch_execz .LBB40_32
; %bb.31:
	v_bcnt_u32_b32 v1, v1, 0
	v_bcnt_u32_b32 v1, v2, v1
	s_waitcnt lgkmcnt(0)
	v_add_u32_e32 v1, v36, v1
	ds_write_b32 v37, v1 offset:16
.LBB40_32:
	s_or_b64 exec, exec, s[0:1]
	s_mov_b32 s2, 0xffff
	v_and_b32_sdwa v3, s2, v33 dst_sel:DWORD dst_unused:UNUSED_PAD src0_sel:DWORD src1_sel:BYTE_0
	v_and_b32_e32 v2, 1, v3
	v_add_co_u32_e32 v2, vcc, -1, v2
	v_and_b32_e32 v41, 1, v33
	v_addc_co_u32_e64 v4, s[0:1], 0, -1, vcc
	v_cmp_ne_u32_e32 vcc, 0, v41
	v_lshlrev_b32_e32 v1, 4, v3
	v_xor_b32_e32 v2, vcc_lo, v2
	v_add_u32_e32 v40, v10, v1
	v_mov_b32_e32 v1, 0
	v_and_b32_e32 v41, exec_lo, v2
	v_lshlrev_b32_e32 v2, 30, v3
	v_xor_b32_e32 v4, vcc_hi, v4
	v_cmp_gt_i64_e32 vcc, 0, v[1:2]
	v_not_b32_e32 v2, v2
	v_ashrrev_i32_e32 v2, 31, v2
	v_xor_b32_e32 v42, vcc_hi, v2
	v_xor_b32_e32 v2, vcc_lo, v2
	v_and_b32_e32 v41, v41, v2
	v_lshlrev_b32_e32 v2, 29, v3
	v_cmp_gt_i64_e32 vcc, 0, v[1:2]
	v_not_b32_e32 v2, v2
	v_and_b32_e32 v4, exec_hi, v4
	v_ashrrev_i32_e32 v2, 31, v2
	v_and_b32_e32 v4, v4, v42
	v_xor_b32_e32 v42, vcc_hi, v2
	v_xor_b32_e32 v2, vcc_lo, v2
	v_and_b32_e32 v41, v41, v2
	v_lshlrev_b32_e32 v2, 28, v3
	v_cmp_gt_i64_e32 vcc, 0, v[1:2]
	v_not_b32_e32 v2, v2
	v_ashrrev_i32_e32 v2, 31, v2
	v_and_b32_e32 v4, v4, v42
	v_xor_b32_e32 v42, vcc_hi, v2
	v_xor_b32_e32 v2, vcc_lo, v2
	v_and_b32_e32 v41, v41, v2
	v_lshlrev_b32_e32 v2, 27, v3
	v_cmp_gt_i64_e32 vcc, 0, v[1:2]
	v_not_b32_e32 v2, v2
	;; [unrolled: 8-line block ×4, first 2 shown]
	v_ashrrev_i32_e32 v2, 31, v2
	v_and_b32_e32 v4, v4, v42
	v_xor_b32_e32 v3, vcc_hi, v2
	v_xor_b32_e32 v2, vcc_lo, v2
	v_and_b32_e32 v3, v4, v3
	v_and_b32_e32 v4, v41, v2
	v_lshlrev_b32_e32 v2, 24, v33
	v_cmp_gt_i64_e32 vcc, 0, v[1:2]
	v_not_b32_e32 v2, v2
	v_ashrrev_i32_e32 v2, 31, v2
	v_xor_b32_e32 v41, vcc_hi, v2
	v_xor_b32_e32 v2, vcc_lo, v2
	; wave barrier
	ds_read_b32 v39, v40 offset:16
	v_and_b32_e32 v2, v4, v2
	v_and_b32_e32 v3, v3, v41
	v_mbcnt_lo_u32_b32 v4, v2, 0
	v_mbcnt_hi_u32_b32 v41, v3, v4
	v_cmp_ne_u64_e32 vcc, 0, v[2:3]
	v_cmp_eq_u32_e64 s[0:1], 0, v41
	s_and_b64 s[4:5], vcc, s[0:1]
	; wave barrier
	s_and_saveexec_b64 s[0:1], s[4:5]
	s_cbranch_execz .LBB40_34
; %bb.33:
	v_bcnt_u32_b32 v2, v2, 0
	v_bcnt_u32_b32 v2, v3, v2
	s_waitcnt lgkmcnt(0)
	v_add_u32_e32 v2, v39, v2
	ds_write_b32 v40, v2 offset:16
.LBB40_34:
	s_or_b64 exec, exec, s[0:1]
	v_and_b32_sdwa v3, s2, v32 dst_sel:DWORD dst_unused:UNUSED_PAD src0_sel:DWORD src1_sel:BYTE_0
	v_lshlrev_b32_e32 v2, 4, v3
	v_add_u32_e32 v43, v10, v2
	v_and_b32_e32 v2, 1, v3
	v_add_co_u32_e32 v2, vcc, -1, v2
	v_and_b32_e32 v44, 1, v32
	v_addc_co_u32_e64 v4, s[0:1], 0, -1, vcc
	v_cmp_ne_u32_e32 vcc, 0, v44
	v_xor_b32_e32 v2, vcc_lo, v2
	v_and_b32_e32 v44, exec_lo, v2
	v_lshlrev_b32_e32 v2, 30, v3
	v_xor_b32_e32 v4, vcc_hi, v4
	v_cmp_gt_i64_e32 vcc, 0, v[1:2]
	v_not_b32_e32 v2, v2
	v_ashrrev_i32_e32 v2, 31, v2
	v_xor_b32_e32 v45, vcc_hi, v2
	v_xor_b32_e32 v2, vcc_lo, v2
	v_and_b32_e32 v44, v44, v2
	v_lshlrev_b32_e32 v2, 29, v3
	v_cmp_gt_i64_e32 vcc, 0, v[1:2]
	v_not_b32_e32 v2, v2
	v_and_b32_e32 v4, exec_hi, v4
	v_ashrrev_i32_e32 v2, 31, v2
	v_and_b32_e32 v4, v4, v45
	v_xor_b32_e32 v45, vcc_hi, v2
	v_xor_b32_e32 v2, vcc_lo, v2
	v_and_b32_e32 v44, v44, v2
	v_lshlrev_b32_e32 v2, 28, v3
	v_cmp_gt_i64_e32 vcc, 0, v[1:2]
	v_not_b32_e32 v2, v2
	v_ashrrev_i32_e32 v2, 31, v2
	v_and_b32_e32 v4, v4, v45
	v_xor_b32_e32 v45, vcc_hi, v2
	v_xor_b32_e32 v2, vcc_lo, v2
	v_and_b32_e32 v44, v44, v2
	v_lshlrev_b32_e32 v2, 27, v3
	v_cmp_gt_i64_e32 vcc, 0, v[1:2]
	v_not_b32_e32 v2, v2
	;; [unrolled: 8-line block ×4, first 2 shown]
	v_ashrrev_i32_e32 v2, 31, v2
	v_and_b32_e32 v4, v4, v45
	v_xor_b32_e32 v3, vcc_hi, v2
	v_xor_b32_e32 v2, vcc_lo, v2
	v_and_b32_e32 v3, v4, v3
	v_and_b32_e32 v4, v44, v2
	v_lshlrev_b32_e32 v2, 24, v32
	v_cmp_gt_i64_e32 vcc, 0, v[1:2]
	v_not_b32_e32 v1, v2
	v_ashrrev_i32_e32 v1, 31, v1
	v_xor_b32_e32 v2, vcc_hi, v1
	v_xor_b32_e32 v1, vcc_lo, v1
	; wave barrier
	ds_read_b32 v42, v43 offset:16
	v_and_b32_e32 v1, v4, v1
	v_and_b32_e32 v2, v3, v2
	v_mbcnt_lo_u32_b32 v3, v1, 0
	v_mbcnt_hi_u32_b32 v44, v2, v3
	v_cmp_ne_u64_e32 vcc, 0, v[1:2]
	v_cmp_eq_u32_e64 s[0:1], 0, v44
	s_and_b64 s[2:3], vcc, s[0:1]
	; wave barrier
	s_and_saveexec_b64 s[0:1], s[2:3]
	s_cbranch_execz .LBB40_36
; %bb.35:
	v_bcnt_u32_b32 v1, v1, 0
	v_bcnt_u32_b32 v1, v2, v1
	s_waitcnt lgkmcnt(0)
	v_add_u32_e32 v1, v42, v1
	ds_write_b32 v43, v1 offset:16
.LBB40_36:
	s_or_b64 exec, exec, s[0:1]
	s_mov_b32 s2, 0xffff
	v_and_b32_sdwa v3, s2, v31 dst_sel:DWORD dst_unused:UNUSED_PAD src0_sel:DWORD src1_sel:BYTE_0
	v_and_b32_e32 v2, 1, v3
	v_add_co_u32_e32 v2, vcc, -1, v2
	v_and_b32_e32 v47, 1, v31
	v_addc_co_u32_e64 v4, s[0:1], 0, -1, vcc
	v_cmp_ne_u32_e32 vcc, 0, v47
	v_lshlrev_b32_e32 v1, 4, v3
	v_xor_b32_e32 v2, vcc_lo, v2
	v_add_u32_e32 v46, v10, v1
	v_mov_b32_e32 v1, 0
	v_and_b32_e32 v47, exec_lo, v2
	v_lshlrev_b32_e32 v2, 30, v3
	v_xor_b32_e32 v4, vcc_hi, v4
	v_cmp_gt_i64_e32 vcc, 0, v[1:2]
	v_not_b32_e32 v2, v2
	v_ashrrev_i32_e32 v2, 31, v2
	v_xor_b32_e32 v48, vcc_hi, v2
	v_xor_b32_e32 v2, vcc_lo, v2
	v_and_b32_e32 v47, v47, v2
	v_lshlrev_b32_e32 v2, 29, v3
	v_cmp_gt_i64_e32 vcc, 0, v[1:2]
	v_not_b32_e32 v2, v2
	v_and_b32_e32 v4, exec_hi, v4
	v_ashrrev_i32_e32 v2, 31, v2
	v_and_b32_e32 v4, v4, v48
	v_xor_b32_e32 v48, vcc_hi, v2
	v_xor_b32_e32 v2, vcc_lo, v2
	v_and_b32_e32 v47, v47, v2
	v_lshlrev_b32_e32 v2, 28, v3
	v_cmp_gt_i64_e32 vcc, 0, v[1:2]
	v_not_b32_e32 v2, v2
	v_ashrrev_i32_e32 v2, 31, v2
	v_and_b32_e32 v4, v4, v48
	v_xor_b32_e32 v48, vcc_hi, v2
	v_xor_b32_e32 v2, vcc_lo, v2
	v_and_b32_e32 v47, v47, v2
	v_lshlrev_b32_e32 v2, 27, v3
	v_cmp_gt_i64_e32 vcc, 0, v[1:2]
	v_not_b32_e32 v2, v2
	v_ashrrev_i32_e32 v2, 31, v2
	v_and_b32_e32 v4, v4, v48
	v_xor_b32_e32 v48, vcc_hi, v2
	v_xor_b32_e32 v2, vcc_lo, v2
	v_and_b32_e32 v47, v47, v2
	v_lshlrev_b32_e32 v2, 26, v3
	v_cmp_gt_i64_e32 vcc, 0, v[1:2]
	v_not_b32_e32 v2, v2
	v_ashrrev_i32_e32 v2, 31, v2
	v_and_b32_e32 v4, v4, v48
	v_xor_b32_e32 v48, vcc_hi, v2
	v_xor_b32_e32 v2, vcc_lo, v2
	v_and_b32_e32 v47, v47, v2
	v_lshlrev_b32_e32 v2, 25, v3
	v_cmp_gt_i64_e32 vcc, 0, v[1:2]
	v_not_b32_e32 v2, v2
	v_ashrrev_i32_e32 v2, 31, v2
	v_and_b32_e32 v4, v4, v48
	v_xor_b32_e32 v3, vcc_hi, v2
	v_xor_b32_e32 v2, vcc_lo, v2
	v_and_b32_e32 v3, v4, v3
	v_and_b32_e32 v4, v47, v2
	v_lshlrev_b32_e32 v2, 24, v31
	v_cmp_gt_i64_e32 vcc, 0, v[1:2]
	v_not_b32_e32 v2, v2
	v_ashrrev_i32_e32 v2, 31, v2
	v_xor_b32_e32 v47, vcc_hi, v2
	v_xor_b32_e32 v2, vcc_lo, v2
	; wave barrier
	ds_read_b32 v45, v46 offset:16
	v_and_b32_e32 v2, v4, v2
	v_and_b32_e32 v3, v3, v47
	v_mbcnt_lo_u32_b32 v4, v2, 0
	v_mbcnt_hi_u32_b32 v47, v3, v4
	v_cmp_ne_u64_e32 vcc, 0, v[2:3]
	v_cmp_eq_u32_e64 s[0:1], 0, v47
	s_and_b64 s[4:5], vcc, s[0:1]
	; wave barrier
	s_and_saveexec_b64 s[0:1], s[4:5]
	s_cbranch_execz .LBB40_38
; %bb.37:
	v_bcnt_u32_b32 v2, v2, 0
	v_bcnt_u32_b32 v2, v3, v2
	s_waitcnt lgkmcnt(0)
	v_add_u32_e32 v2, v45, v2
	ds_write_b32 v46, v2 offset:16
.LBB40_38:
	s_or_b64 exec, exec, s[0:1]
	v_and_b32_sdwa v3, s2, v30 dst_sel:DWORD dst_unused:UNUSED_PAD src0_sel:DWORD src1_sel:BYTE_0
	v_lshlrev_b32_e32 v2, 4, v3
	v_add_u32_e32 v49, v10, v2
	v_and_b32_e32 v2, 1, v3
	v_add_co_u32_e32 v2, vcc, -1, v2
	v_and_b32_e32 v50, 1, v30
	v_addc_co_u32_e64 v4, s[0:1], 0, -1, vcc
	v_cmp_ne_u32_e32 vcc, 0, v50
	v_xor_b32_e32 v2, vcc_lo, v2
	v_and_b32_e32 v50, exec_lo, v2
	v_lshlrev_b32_e32 v2, 30, v3
	v_xor_b32_e32 v4, vcc_hi, v4
	v_cmp_gt_i64_e32 vcc, 0, v[1:2]
	v_not_b32_e32 v2, v2
	v_ashrrev_i32_e32 v2, 31, v2
	v_xor_b32_e32 v51, vcc_hi, v2
	v_xor_b32_e32 v2, vcc_lo, v2
	v_and_b32_e32 v50, v50, v2
	v_lshlrev_b32_e32 v2, 29, v3
	v_cmp_gt_i64_e32 vcc, 0, v[1:2]
	v_not_b32_e32 v2, v2
	v_and_b32_e32 v4, exec_hi, v4
	v_ashrrev_i32_e32 v2, 31, v2
	v_and_b32_e32 v4, v4, v51
	v_xor_b32_e32 v51, vcc_hi, v2
	v_xor_b32_e32 v2, vcc_lo, v2
	v_and_b32_e32 v50, v50, v2
	v_lshlrev_b32_e32 v2, 28, v3
	v_cmp_gt_i64_e32 vcc, 0, v[1:2]
	v_not_b32_e32 v2, v2
	v_ashrrev_i32_e32 v2, 31, v2
	v_and_b32_e32 v4, v4, v51
	v_xor_b32_e32 v51, vcc_hi, v2
	v_xor_b32_e32 v2, vcc_lo, v2
	v_and_b32_e32 v50, v50, v2
	v_lshlrev_b32_e32 v2, 27, v3
	v_cmp_gt_i64_e32 vcc, 0, v[1:2]
	v_not_b32_e32 v2, v2
	;; [unrolled: 8-line block ×4, first 2 shown]
	v_ashrrev_i32_e32 v2, 31, v2
	v_and_b32_e32 v4, v4, v51
	v_xor_b32_e32 v3, vcc_hi, v2
	v_xor_b32_e32 v2, vcc_lo, v2
	v_and_b32_e32 v3, v4, v3
	v_and_b32_e32 v4, v50, v2
	v_lshlrev_b32_e32 v2, 24, v30
	v_cmp_gt_i64_e32 vcc, 0, v[1:2]
	v_not_b32_e32 v1, v2
	v_ashrrev_i32_e32 v1, 31, v1
	v_xor_b32_e32 v2, vcc_hi, v1
	v_xor_b32_e32 v1, vcc_lo, v1
	; wave barrier
	ds_read_b32 v48, v49 offset:16
	v_and_b32_e32 v1, v4, v1
	v_and_b32_e32 v2, v3, v2
	v_mbcnt_lo_u32_b32 v3, v1, 0
	v_mbcnt_hi_u32_b32 v50, v2, v3
	v_cmp_ne_u64_e32 vcc, 0, v[1:2]
	v_cmp_eq_u32_e64 s[0:1], 0, v50
	s_and_b64 s[2:3], vcc, s[0:1]
	; wave barrier
	s_and_saveexec_b64 s[0:1], s[2:3]
	s_cbranch_execz .LBB40_40
; %bb.39:
	v_bcnt_u32_b32 v1, v1, 0
	v_bcnt_u32_b32 v1, v2, v1
	s_waitcnt lgkmcnt(0)
	v_add_u32_e32 v1, v48, v1
	ds_write_b32 v49, v1 offset:16
.LBB40_40:
	s_or_b64 exec, exec, s[0:1]
	s_mov_b32 s0, 0xffff
	v_and_b32_sdwa v3, s0, v27 dst_sel:DWORD dst_unused:UNUSED_PAD src0_sel:DWORD src1_sel:BYTE_0
	v_and_b32_e32 v2, 1, v3
	v_add_co_u32_e32 v2, vcc, -1, v2
	v_and_b32_e32 v54, 1, v27
	v_addc_co_u32_e64 v4, s[0:1], 0, -1, vcc
	v_cmp_ne_u32_e32 vcc, 0, v54
	v_lshlrev_b32_e32 v1, 4, v3
	v_xor_b32_e32 v2, vcc_lo, v2
	v_add_u32_e32 v52, v10, v1
	v_mov_b32_e32 v1, 0
	v_and_b32_e32 v54, exec_lo, v2
	v_lshlrev_b32_e32 v2, 30, v3
	v_xor_b32_e32 v4, vcc_hi, v4
	v_cmp_gt_i64_e32 vcc, 0, v[1:2]
	v_not_b32_e32 v2, v2
	v_ashrrev_i32_e32 v2, 31, v2
	v_xor_b32_e32 v55, vcc_hi, v2
	v_xor_b32_e32 v2, vcc_lo, v2
	v_and_b32_e32 v54, v54, v2
	v_lshlrev_b32_e32 v2, 29, v3
	v_cmp_gt_i64_e32 vcc, 0, v[1:2]
	v_not_b32_e32 v2, v2
	v_and_b32_e32 v4, exec_hi, v4
	v_ashrrev_i32_e32 v2, 31, v2
	v_and_b32_e32 v4, v4, v55
	v_xor_b32_e32 v55, vcc_hi, v2
	v_xor_b32_e32 v2, vcc_lo, v2
	v_and_b32_e32 v54, v54, v2
	v_lshlrev_b32_e32 v2, 28, v3
	v_cmp_gt_i64_e32 vcc, 0, v[1:2]
	v_not_b32_e32 v2, v2
	v_ashrrev_i32_e32 v2, 31, v2
	v_and_b32_e32 v4, v4, v55
	v_xor_b32_e32 v55, vcc_hi, v2
	v_xor_b32_e32 v2, vcc_lo, v2
	v_and_b32_e32 v54, v54, v2
	v_lshlrev_b32_e32 v2, 27, v3
	v_cmp_gt_i64_e32 vcc, 0, v[1:2]
	v_not_b32_e32 v2, v2
	v_ashrrev_i32_e32 v2, 31, v2
	v_and_b32_e32 v4, v4, v55
	v_xor_b32_e32 v55, vcc_hi, v2
	v_xor_b32_e32 v2, vcc_lo, v2
	v_and_b32_e32 v54, v54, v2
	v_lshlrev_b32_e32 v2, 26, v3
	v_cmp_gt_i64_e32 vcc, 0, v[1:2]
	v_not_b32_e32 v2, v2
	v_ashrrev_i32_e32 v2, 31, v2
	v_and_b32_e32 v4, v4, v55
	v_xor_b32_e32 v55, vcc_hi, v2
	v_xor_b32_e32 v2, vcc_lo, v2
	v_and_b32_e32 v54, v54, v2
	v_lshlrev_b32_e32 v2, 25, v3
	v_cmp_gt_i64_e32 vcc, 0, v[1:2]
	v_not_b32_e32 v2, v2
	v_ashrrev_i32_e32 v2, 31, v2
	v_and_b32_e32 v4, v4, v55
	v_xor_b32_e32 v3, vcc_hi, v2
	v_xor_b32_e32 v2, vcc_lo, v2
	v_and_b32_e32 v3, v4, v3
	v_and_b32_e32 v4, v54, v2
	v_lshlrev_b32_e32 v2, 24, v27
	v_cmp_gt_i64_e32 vcc, 0, v[1:2]
	v_not_b32_e32 v1, v2
	v_ashrrev_i32_e32 v1, 31, v1
	v_xor_b32_e32 v2, vcc_hi, v1
	v_xor_b32_e32 v1, vcc_lo, v1
	; wave barrier
	ds_read_b32 v51, v52 offset:16
	v_and_b32_e32 v1, v4, v1
	v_and_b32_e32 v2, v3, v2
	v_mbcnt_lo_u32_b32 v3, v1, 0
	v_mbcnt_hi_u32_b32 v54, v2, v3
	v_cmp_ne_u64_e32 vcc, 0, v[1:2]
	v_cmp_eq_u32_e64 s[0:1], 0, v54
	v_and_b32_e32 v53, 0xc0, v0
	s_and_b64 s[2:3], vcc, s[0:1]
	; wave barrier
	s_and_saveexec_b64 s[0:1], s[2:3]
	s_cbranch_execz .LBB40_42
; %bb.41:
	v_bcnt_u32_b32 v1, v1, 0
	v_bcnt_u32_b32 v1, v2, v1
	s_waitcnt lgkmcnt(0)
	v_add_u32_e32 v1, v51, v1
	ds_write_b32 v52, v1 offset:16
.LBB40_42:
	s_or_b64 exec, exec, s[0:1]
	; wave barrier
	s_waitcnt lgkmcnt(0)
	s_barrier
	ds_read2_b64 v[1:4], v15 offset0:2 offset1:3
	v_cmp_eq_u32_e64 s[0:1], 0, v22
	v_or_b32_e32 v22, 63, v53
	v_cmp_eq_u32_e32 vcc, v0, v22
	v_cmp_eq_u32_e64 s[8:9], 0, v21
	s_waitcnt lgkmcnt(0)
	v_add_u32_e32 v22, v2, v1
	v_add3_u32 v4, v22, v3, v4
	v_cmp_lt_u32_e64 s[10:11], 1, v21
	v_cmp_lt_u32_e64 s[14:15], 3, v21
	v_mov_b32_dpp v22, v4 row_shr:1 row_mask:0xf bank_mask:0xf
	v_cndmask_b32_e64 v22, v22, 0, s[8:9]
	v_add_u32_e32 v4, v22, v4
	v_cmp_lt_u32_e64 s[16:17], 7, v21
	v_bfe_i32 v55, v17, 4, 1
	v_mov_b32_dpp v22, v4 row_shr:2 row_mask:0xf bank_mask:0xf
	v_cndmask_b32_e64 v22, 0, v22, s[10:11]
	v_add_u32_e32 v4, v4, v22
	v_cmp_lt_u32_e64 s[18:19], 31, v17
	s_nop 0
	v_mov_b32_dpp v22, v4 row_shr:4 row_mask:0xf bank_mask:0xf
	v_cndmask_b32_e64 v22, 0, v22, s[14:15]
	v_add_u32_e32 v4, v4, v22
	s_nop 1
	v_mov_b32_dpp v22, v4 row_shr:8 row_mask:0xf bank_mask:0xf
	v_cndmask_b32_e64 v21, 0, v22, s[16:17]
	v_add_u32_e32 v4, v4, v21
	s_nop 1
	v_mov_b32_dpp v21, v4 row_bcast:15 row_mask:0xf bank_mask:0xf
	v_and_b32_e32 v21, v55, v21
	v_add_u32_e32 v4, v4, v21
	s_nop 1
	v_mov_b32_dpp v21, v4 row_bcast:31 row_mask:0xf bank_mask:0xf
	v_cndmask_b32_e64 v21, 0, v21, s[18:19]
	v_add_u32_e32 v21, v4, v21
	s_and_saveexec_b64 s[2:3], vcc
; %bb.43:
	ds_write_b32 v16, v21
; %bb.44:
	s_or_b64 exec, exec, s[2:3]
	v_cmp_gt_u32_e64 s[12:13], 4, v0
	v_cmp_eq_u32_e64 s[6:7], 0, v20
	v_cmp_lt_u32_e64 s[4:5], 1, v20
	v_add_u32_e32 v19, v15, v19
	s_waitcnt lgkmcnt(0)
	s_barrier
	s_and_saveexec_b64 s[2:3], s[12:13]
	s_cbranch_execz .LBB40_46
; %bb.45:
	ds_read_b32 v4, v19
	s_waitcnt lgkmcnt(0)
	s_nop 0
	v_mov_b32_dpp v20, v4 row_shr:1 row_mask:0xf bank_mask:0xf
	v_cndmask_b32_e64 v20, v20, 0, s[6:7]
	v_add_u32_e32 v4, v20, v4
	s_nop 1
	v_mov_b32_dpp v20, v4 row_shr:2 row_mask:0xf bank_mask:0xf
	v_cndmask_b32_e64 v20, 0, v20, s[4:5]
	v_add_u32_e32 v4, v4, v20
	ds_write_b32 v19, v4
.LBB40_46:
	s_or_b64 exec, exec, s[2:3]
	v_subrev_co_u32_e64 v55, s[2:3], 1, v17
	v_mul_u32_u24_e32 v22, 7, v53
	v_cmp_lt_u32_e64 s[20:21], 63, v0
	v_add_u32_e32 v20, -4, v16
	v_mov_b32_e32 v4, 0
	v_mov_b32_e32 v53, 0
	s_waitcnt lgkmcnt(0)
	s_barrier
	s_and_saveexec_b64 s[22:23], s[20:21]
; %bb.47:
	ds_read_b32 v53, v20
; %bb.48:
	s_or_b64 exec, exec, s[22:23]
	v_cmp_lt_i32_e64 s[22:23], v55, v18
	v_cndmask_b32_e64 v18, v55, v17, s[22:23]
	v_lshlrev_b32_e32 v18, 2, v18
	s_waitcnt lgkmcnt(0)
	v_add_u32_e32 v21, v53, v21
	ds_bpermute_b32 v21, v18, v21
	v_cmp_eq_u32_e64 s[22:23], 0, v0
	v_add_u32_e32 v55, v17, v22
	s_mov_b32 s24, 0
	v_lshlrev_b32_e32 v17, 1, v55
	s_waitcnt lgkmcnt(0)
	v_cndmask_b32_e64 v21, v21, v53, s[2:3]
	v_cndmask_b32_e64 v0, v21, 0, s[22:23]
	v_add_u32_e32 v1, v0, v1
	v_add_u32_e32 v2, v1, v2
	;; [unrolled: 1-line block ×3, first 2 shown]
	ds_write2_b64 v15, v[0:1], v[2:3] offset0:2 offset1:3
	s_waitcnt lgkmcnt(0)
	s_barrier
	ds_read_b32 v0, v29 offset:16
	ds_read_b32 v1, v37 offset:16
	;; [unrolled: 1-line block ×7, first 2 shown]
	s_waitcnt lgkmcnt(6)
	v_add_u32_e32 v0, v0, v28
	s_waitcnt lgkmcnt(5)
	v_add3_u32 v1, v38, v36, v1
	s_waitcnt lgkmcnt(2)
	v_add3_u32 v36, v47, v45, v21
	v_lshlrev_b32_e32 v21, 1, v0
	v_add3_u32 v2, v41, v39, v2
	s_waitcnt lgkmcnt(0)
	s_barrier
	ds_write_b16 v21, v35
	v_lshlrev_b32_e32 v21, 1, v1
	v_add3_u32 v3, v44, v42, v3
	ds_write_b16 v21, v34
	v_lshlrev_b32_e32 v21, 1, v2
	ds_write_b16 v21, v33
	v_lshlrev_b32_e32 v21, 1, v3
	v_add3_u32 v37, v50, v48, v22
	ds_write_b16 v21, v32
	v_lshlrev_b32_e32 v21, 1, v36
	v_add3_u32 v38, v54, v51, v29
	ds_write_b16 v21, v31
	v_lshlrev_b32_e32 v21, 1, v37
	ds_write_b16 v21, v30
	v_lshlrev_b32_e32 v21, 1, v38
	s_mov_b32 s26, s24
	ds_write_b16 v21, v27
	s_waitcnt lgkmcnt(0)
	s_barrier
	ds_read_u16 v31, v17
	ds_read_u16 v30, v17 offset:128
	ds_read_u16 v29, v17 offset:256
	;; [unrolled: 1-line block ×6, first 2 shown]
	s_waitcnt lgkmcnt(0)
	s_barrier
	ds_write_b8 v0, v5
	ds_write_b8 v1, v11
	;; [unrolled: 1-line block ×7, first 2 shown]
	s_mov_b32 s25, s24
	s_mov_b32 s27, s24
	v_mov_b32_e32 v0, s24
	v_mov_b32_e32 v2, s26
	;; [unrolled: 1-line block ×4, first 2 shown]
	s_waitcnt lgkmcnt(0)
	s_barrier
	ds_read_u8 v11, v55
	ds_read_u8 v12, v55 offset:64
	ds_read_u8 v23, v55 offset:128
	;; [unrolled: 1-line block ×6, first 2 shown]
	s_waitcnt lgkmcnt(0)
	s_barrier
	ds_write2_b64 v15, v[0:1], v[2:3] offset0:2 offset1:3
	v_mov_b32_e32 v2, 1
	v_and_b32_sdwa v0, v31, v2 dst_sel:DWORD dst_unused:UNUSED_PAD src0_sel:BYTE_1 src1_sel:DWORD
	v_add_co_u32_e64 v1, s[24:25], -1, v0
	v_addc_co_u32_e64 v3, s[24:25], 0, -1, s[24:25]
	v_cmp_ne_u32_e64 s[24:25], 0, v0
	v_xor_b32_e32 v0, s25, v3
	v_mov_b32_e32 v3, 30
	v_lshlrev_b32_sdwa v5, v3, v31 dst_sel:DWORD dst_unused:UNUSED_PAD src0_sel:DWORD src1_sel:BYTE_1
	v_xor_b32_e32 v1, s24, v1
	v_cmp_gt_i64_e64 s[24:25], 0, v[4:5]
	v_not_b32_e32 v5, v5
	v_ashrrev_i32_e32 v5, 31, v5
	v_and_b32_e32 v0, exec_hi, v0
	v_xor_b32_e32 v34, s25, v5
	v_and_b32_e32 v1, exec_lo, v1
	v_xor_b32_e32 v5, s24, v5
	v_and_b32_e32 v0, v0, v34
	v_mov_b32_e32 v34, 29
	v_and_b32_e32 v1, v1, v5
	v_lshlrev_b32_sdwa v5, v34, v31 dst_sel:DWORD dst_unused:UNUSED_PAD src0_sel:DWORD src1_sel:BYTE_1
	v_cmp_gt_i64_e64 s[24:25], 0, v[4:5]
	v_not_b32_e32 v5, v5
	v_ashrrev_i32_e32 v5, 31, v5
	v_xor_b32_e32 v35, s25, v5
	v_xor_b32_e32 v5, s24, v5
	v_and_b32_e32 v0, v0, v35
	v_mov_b32_e32 v35, 28
	v_and_b32_e32 v1, v1, v5
	v_lshlrev_b32_sdwa v5, v35, v31 dst_sel:DWORD dst_unused:UNUSED_PAD src0_sel:DWORD src1_sel:BYTE_1
	v_cmp_gt_i64_e64 s[24:25], 0, v[4:5]
	v_not_b32_e32 v5, v5
	v_ashrrev_i32_e32 v5, 31, v5
	v_xor_b32_e32 v36, s25, v5
	;; [unrolled: 9-line block ×6, first 2 shown]
	v_xor_b32_e32 v5, s24, v1
	v_and_b32_e32 v1, v0, v4
	v_and_b32_e32 v0, v40, v5
	v_mbcnt_lo_u32_b32 v4, v0, 0
	v_mov_b32_e32 v32, 4
	v_mbcnt_hi_u32_b32 v4, v1, v4
	v_cmp_ne_u64_e64 s[24:25], 0, v[0:1]
	v_lshlrev_b32_sdwa v33, v32, v31 dst_sel:DWORD dst_unused:UNUSED_PAD src0_sel:DWORD src1_sel:BYTE_1
	v_cmp_eq_u32_e64 s[26:27], 0, v4
	s_and_b64 s[26:27], s[24:25], s[26:27]
	v_add_u32_e32 v5, v10, v33
	s_waitcnt lgkmcnt(0)
	s_barrier
	; wave barrier
	s_and_saveexec_b64 s[24:25], s[26:27]
; %bb.49:
	v_bcnt_u32_b32 v0, v0, 0
	v_bcnt_u32_b32 v0, v1, v0
	ds_write_b32 v5, v0 offset:16
; %bb.50:
	s_or_b64 exec, exec, s[24:25]
	v_and_b32_sdwa v1, v30, v2 dst_sel:DWORD dst_unused:UNUSED_PAD src0_sel:BYTE_1 src1_sel:DWORD
	v_add_co_u32_e64 v2, s[24:25], -1, v1
	v_addc_co_u32_e64 v40, s[24:25], 0, -1, s[24:25]
	v_cmp_ne_u32_e64 s[24:25], 0, v1
	v_lshlrev_b32_sdwa v0, v32, v30 dst_sel:DWORD dst_unused:UNUSED_PAD src0_sel:DWORD src1_sel:BYTE_1
	v_xor_b32_e32 v1, s25, v40
	v_add_u32_e32 v33, v10, v0
	v_mov_b32_e32 v0, 0
	v_and_b32_e32 v40, exec_hi, v1
	v_lshlrev_b32_sdwa v1, v3, v30 dst_sel:DWORD dst_unused:UNUSED_PAD src0_sel:DWORD src1_sel:BYTE_1
	v_xor_b32_e32 v2, s24, v2
	v_cmp_gt_i64_e64 s[24:25], 0, v[0:1]
	v_not_b32_e32 v1, v1
	v_ashrrev_i32_e32 v1, 31, v1
	v_and_b32_e32 v2, exec_lo, v2
	v_xor_b32_e32 v3, s25, v1
	v_xor_b32_e32 v1, s24, v1
	v_and_b32_e32 v2, v2, v1
	v_lshlrev_b32_sdwa v1, v34, v30 dst_sel:DWORD dst_unused:UNUSED_PAD src0_sel:DWORD src1_sel:BYTE_1
	v_cmp_gt_i64_e64 s[24:25], 0, v[0:1]
	v_not_b32_e32 v1, v1
	v_ashrrev_i32_e32 v1, 31, v1
	v_xor_b32_e32 v34, s25, v1
	v_xor_b32_e32 v1, s24, v1
	v_and_b32_e32 v2, v2, v1
	v_lshlrev_b32_sdwa v1, v35, v30 dst_sel:DWORD dst_unused:UNUSED_PAD src0_sel:DWORD src1_sel:BYTE_1
	v_cmp_gt_i64_e64 s[24:25], 0, v[0:1]
	v_not_b32_e32 v1, v1
	v_and_b32_e32 v3, v40, v3
	v_ashrrev_i32_e32 v1, 31, v1
	v_and_b32_e32 v3, v3, v34
	v_xor_b32_e32 v34, s25, v1
	v_xor_b32_e32 v1, s24, v1
	v_and_b32_e32 v2, v2, v1
	v_lshlrev_b32_sdwa v1, v36, v30 dst_sel:DWORD dst_unused:UNUSED_PAD src0_sel:DWORD src1_sel:BYTE_1
	v_cmp_gt_i64_e64 s[24:25], 0, v[0:1]
	v_not_b32_e32 v1, v1
	v_ashrrev_i32_e32 v1, 31, v1
	v_and_b32_e32 v3, v3, v34
	v_xor_b32_e32 v34, s25, v1
	v_xor_b32_e32 v1, s24, v1
	v_and_b32_e32 v2, v2, v1
	v_lshlrev_b32_sdwa v1, v37, v30 dst_sel:DWORD dst_unused:UNUSED_PAD src0_sel:DWORD src1_sel:BYTE_1
	v_cmp_gt_i64_e64 s[24:25], 0, v[0:1]
	v_not_b32_e32 v1, v1
	;; [unrolled: 8-line block ×3, first 2 shown]
	v_ashrrev_i32_e32 v1, 31, v1
	v_and_b32_e32 v3, v3, v34
	v_xor_b32_e32 v34, s25, v1
	v_xor_b32_e32 v1, s24, v1
	v_and_b32_e32 v3, v3, v34
	v_and_b32_e32 v34, v2, v1
	v_lshlrev_b32_sdwa v1, v39, v30 dst_sel:DWORD dst_unused:UNUSED_PAD src0_sel:DWORD src1_sel:BYTE_1
	v_cmp_gt_i64_e64 s[24:25], 0, v[0:1]
	v_not_b32_e32 v1, v1
	v_ashrrev_i32_e32 v1, 31, v1
	v_xor_b32_e32 v2, s25, v1
	v_xor_b32_e32 v1, s24, v1
	; wave barrier
	ds_read_b32 v32, v33 offset:16
	v_and_b32_e32 v1, v34, v1
	v_and_b32_e32 v2, v3, v2
	v_mbcnt_lo_u32_b32 v3, v1, 0
	v_mbcnt_hi_u32_b32 v34, v2, v3
	v_cmp_ne_u64_e64 s[24:25], 0, v[1:2]
	v_cmp_eq_u32_e64 s[26:27], 0, v34
	s_and_b64 s[26:27], s[24:25], s[26:27]
	; wave barrier
	s_and_saveexec_b64 s[24:25], s[26:27]
	s_cbranch_execz .LBB40_52
; %bb.51:
	v_bcnt_u32_b32 v1, v1, 0
	v_bcnt_u32_b32 v1, v2, v1
	s_waitcnt lgkmcnt(0)
	v_add_u32_e32 v1, v32, v1
	ds_write_b32 v33, v1 offset:16
.LBB40_52:
	s_or_b64 exec, exec, s[24:25]
	v_mov_b32_e32 v2, 4
	v_lshlrev_b32_sdwa v1, v2, v29 dst_sel:DWORD dst_unused:UNUSED_PAD src0_sel:DWORD src1_sel:BYTE_1
	v_mov_b32_e32 v3, 1
	v_add_u32_e32 v36, v10, v1
	v_and_b32_sdwa v1, v29, v3 dst_sel:DWORD dst_unused:UNUSED_PAD src0_sel:BYTE_1 src1_sel:DWORD
	v_add_co_u32_e64 v37, s[24:25], -1, v1
	v_addc_co_u32_e64 v38, s[24:25], 0, -1, s[24:25]
	v_cmp_ne_u32_e64 s[24:25], 0, v1
	v_xor_b32_e32 v1, s25, v38
	v_mov_b32_e32 v40, 30
	v_and_b32_e32 v38, exec_hi, v1
	v_lshlrev_b32_sdwa v1, v40, v29 dst_sel:DWORD dst_unused:UNUSED_PAD src0_sel:DWORD src1_sel:BYTE_1
	v_xor_b32_e32 v37, s24, v37
	v_cmp_gt_i64_e64 s[24:25], 0, v[0:1]
	v_not_b32_e32 v1, v1
	v_ashrrev_i32_e32 v1, 31, v1
	v_and_b32_e32 v37, exec_lo, v37
	v_xor_b32_e32 v39, s25, v1
	v_xor_b32_e32 v1, s24, v1
	v_mov_b32_e32 v41, 29
	v_and_b32_e32 v37, v37, v1
	v_lshlrev_b32_sdwa v1, v41, v29 dst_sel:DWORD dst_unused:UNUSED_PAD src0_sel:DWORD src1_sel:BYTE_1
	v_cmp_gt_i64_e64 s[24:25], 0, v[0:1]
	v_not_b32_e32 v1, v1
	v_ashrrev_i32_e32 v1, 31, v1
	v_and_b32_e32 v38, v38, v39
	v_xor_b32_e32 v39, s25, v1
	v_xor_b32_e32 v1, s24, v1
	v_mov_b32_e32 v42, 28
	v_and_b32_e32 v37, v37, v1
	v_lshlrev_b32_sdwa v1, v42, v29 dst_sel:DWORD dst_unused:UNUSED_PAD src0_sel:DWORD src1_sel:BYTE_1
	v_cmp_gt_i64_e64 s[24:25], 0, v[0:1]
	v_not_b32_e32 v1, v1
	v_ashrrev_i32_e32 v1, 31, v1
	v_and_b32_e32 v38, v38, v39
	;; [unrolled: 9-line block ×5, first 2 shown]
	v_xor_b32_e32 v39, s25, v1
	v_xor_b32_e32 v1, s24, v1
	v_mov_b32_e32 v46, 24
	v_and_b32_e32 v37, v37, v1
	v_lshlrev_b32_sdwa v1, v46, v29 dst_sel:DWORD dst_unused:UNUSED_PAD src0_sel:DWORD src1_sel:BYTE_1
	v_cmp_gt_i64_e64 s[24:25], 0, v[0:1]
	v_not_b32_e32 v0, v1
	v_ashrrev_i32_e32 v0, 31, v0
	v_xor_b32_e32 v1, s25, v0
	v_xor_b32_e32 v0, s24, v0
	; wave barrier
	ds_read_b32 v35, v36 offset:16
	v_and_b32_e32 v38, v38, v39
	v_and_b32_e32 v0, v37, v0
	v_and_b32_e32 v1, v38, v1
	v_mbcnt_lo_u32_b32 v37, v0, 0
	v_mbcnt_hi_u32_b32 v37, v1, v37
	v_cmp_ne_u64_e64 s[24:25], 0, v[0:1]
	v_cmp_eq_u32_e64 s[26:27], 0, v37
	s_and_b64 s[26:27], s[24:25], s[26:27]
	; wave barrier
	s_and_saveexec_b64 s[24:25], s[26:27]
	s_cbranch_execz .LBB40_54
; %bb.53:
	v_bcnt_u32_b32 v0, v0, 0
	v_bcnt_u32_b32 v0, v1, v0
	s_waitcnt lgkmcnt(0)
	v_add_u32_e32 v0, v35, v0
	ds_write_b32 v36, v0 offset:16
.LBB40_54:
	s_or_b64 exec, exec, s[24:25]
	v_and_b32_sdwa v1, v28, v3 dst_sel:DWORD dst_unused:UNUSED_PAD src0_sel:BYTE_1 src1_sel:DWORD
	v_lshlrev_b32_sdwa v0, v2, v28 dst_sel:DWORD dst_unused:UNUSED_PAD src0_sel:DWORD src1_sel:BYTE_1
	v_add_co_u32_e64 v2, s[24:25], -1, v1
	v_addc_co_u32_e64 v3, s[24:25], 0, -1, s[24:25]
	v_cmp_ne_u32_e64 s[24:25], 0, v1
	v_xor_b32_e32 v1, s25, v3
	v_add_u32_e32 v39, v10, v0
	v_mov_b32_e32 v0, 0
	v_and_b32_e32 v3, exec_hi, v1
	v_lshlrev_b32_sdwa v1, v40, v28 dst_sel:DWORD dst_unused:UNUSED_PAD src0_sel:DWORD src1_sel:BYTE_1
	v_xor_b32_e32 v2, s24, v2
	v_cmp_gt_i64_e64 s[24:25], 0, v[0:1]
	v_not_b32_e32 v1, v1
	v_ashrrev_i32_e32 v1, 31, v1
	v_and_b32_e32 v2, exec_lo, v2
	v_xor_b32_e32 v40, s25, v1
	v_xor_b32_e32 v1, s24, v1
	v_and_b32_e32 v2, v2, v1
	v_lshlrev_b32_sdwa v1, v41, v28 dst_sel:DWORD dst_unused:UNUSED_PAD src0_sel:DWORD src1_sel:BYTE_1
	v_cmp_gt_i64_e64 s[24:25], 0, v[0:1]
	v_not_b32_e32 v1, v1
	v_ashrrev_i32_e32 v1, 31, v1
	v_and_b32_e32 v3, v3, v40
	v_xor_b32_e32 v40, s25, v1
	v_xor_b32_e32 v1, s24, v1
	v_and_b32_e32 v2, v2, v1
	v_lshlrev_b32_sdwa v1, v42, v28 dst_sel:DWORD dst_unused:UNUSED_PAD src0_sel:DWORD src1_sel:BYTE_1
	v_cmp_gt_i64_e64 s[24:25], 0, v[0:1]
	v_not_b32_e32 v1, v1
	v_ashrrev_i32_e32 v1, 31, v1
	v_and_b32_e32 v3, v3, v40
	;; [unrolled: 8-line block ×5, first 2 shown]
	v_xor_b32_e32 v40, s25, v1
	v_xor_b32_e32 v1, s24, v1
	v_and_b32_e32 v3, v3, v40
	v_and_b32_e32 v40, v2, v1
	v_lshlrev_b32_sdwa v1, v46, v28 dst_sel:DWORD dst_unused:UNUSED_PAD src0_sel:DWORD src1_sel:BYTE_1
	v_cmp_gt_i64_e64 s[24:25], 0, v[0:1]
	v_not_b32_e32 v1, v1
	v_ashrrev_i32_e32 v1, 31, v1
	v_xor_b32_e32 v2, s25, v1
	v_xor_b32_e32 v1, s24, v1
	; wave barrier
	ds_read_b32 v38, v39 offset:16
	v_and_b32_e32 v1, v40, v1
	v_and_b32_e32 v2, v3, v2
	v_mbcnt_lo_u32_b32 v3, v1, 0
	v_mbcnt_hi_u32_b32 v40, v2, v3
	v_cmp_ne_u64_e64 s[24:25], 0, v[1:2]
	v_cmp_eq_u32_e64 s[26:27], 0, v40
	s_and_b64 s[26:27], s[24:25], s[26:27]
	; wave barrier
	s_and_saveexec_b64 s[24:25], s[26:27]
	s_cbranch_execz .LBB40_56
; %bb.55:
	v_bcnt_u32_b32 v1, v1, 0
	v_bcnt_u32_b32 v1, v2, v1
	s_waitcnt lgkmcnt(0)
	v_add_u32_e32 v1, v38, v1
	ds_write_b32 v39, v1 offset:16
.LBB40_56:
	s_or_b64 exec, exec, s[24:25]
	v_mov_b32_e32 v2, 4
	v_lshlrev_b32_sdwa v1, v2, v22 dst_sel:DWORD dst_unused:UNUSED_PAD src0_sel:DWORD src1_sel:BYTE_1
	v_mov_b32_e32 v3, 1
	v_add_u32_e32 v42, v10, v1
	v_and_b32_sdwa v1, v22, v3 dst_sel:DWORD dst_unused:UNUSED_PAD src0_sel:BYTE_1 src1_sel:DWORD
	v_add_co_u32_e64 v43, s[24:25], -1, v1
	v_addc_co_u32_e64 v44, s[24:25], 0, -1, s[24:25]
	v_cmp_ne_u32_e64 s[24:25], 0, v1
	v_xor_b32_e32 v1, s25, v44
	v_mov_b32_e32 v46, 30
	v_and_b32_e32 v44, exec_hi, v1
	v_lshlrev_b32_sdwa v1, v46, v22 dst_sel:DWORD dst_unused:UNUSED_PAD src0_sel:DWORD src1_sel:BYTE_1
	v_xor_b32_e32 v43, s24, v43
	v_cmp_gt_i64_e64 s[24:25], 0, v[0:1]
	v_not_b32_e32 v1, v1
	v_ashrrev_i32_e32 v1, 31, v1
	v_and_b32_e32 v43, exec_lo, v43
	v_xor_b32_e32 v45, s25, v1
	v_xor_b32_e32 v1, s24, v1
	v_mov_b32_e32 v47, 29
	v_and_b32_e32 v43, v43, v1
	v_lshlrev_b32_sdwa v1, v47, v22 dst_sel:DWORD dst_unused:UNUSED_PAD src0_sel:DWORD src1_sel:BYTE_1
	v_cmp_gt_i64_e64 s[24:25], 0, v[0:1]
	v_not_b32_e32 v1, v1
	v_ashrrev_i32_e32 v1, 31, v1
	v_and_b32_e32 v44, v44, v45
	v_xor_b32_e32 v45, s25, v1
	v_xor_b32_e32 v1, s24, v1
	v_mov_b32_e32 v48, 28
	v_and_b32_e32 v43, v43, v1
	v_lshlrev_b32_sdwa v1, v48, v22 dst_sel:DWORD dst_unused:UNUSED_PAD src0_sel:DWORD src1_sel:BYTE_1
	v_cmp_gt_i64_e64 s[24:25], 0, v[0:1]
	v_not_b32_e32 v1, v1
	v_ashrrev_i32_e32 v1, 31, v1
	v_and_b32_e32 v44, v44, v45
	;; [unrolled: 9-line block ×5, first 2 shown]
	v_xor_b32_e32 v45, s25, v1
	v_xor_b32_e32 v1, s24, v1
	v_mov_b32_e32 v52, 24
	v_and_b32_e32 v43, v43, v1
	v_lshlrev_b32_sdwa v1, v52, v22 dst_sel:DWORD dst_unused:UNUSED_PAD src0_sel:DWORD src1_sel:BYTE_1
	v_cmp_gt_i64_e64 s[24:25], 0, v[0:1]
	v_not_b32_e32 v0, v1
	v_ashrrev_i32_e32 v0, 31, v0
	v_xor_b32_e32 v1, s25, v0
	v_xor_b32_e32 v0, s24, v0
	; wave barrier
	ds_read_b32 v41, v42 offset:16
	v_and_b32_e32 v44, v44, v45
	v_and_b32_e32 v0, v43, v0
	;; [unrolled: 1-line block ×3, first 2 shown]
	v_mbcnt_lo_u32_b32 v43, v0, 0
	v_mbcnt_hi_u32_b32 v43, v1, v43
	v_cmp_ne_u64_e64 s[24:25], 0, v[0:1]
	v_cmp_eq_u32_e64 s[26:27], 0, v43
	s_and_b64 s[26:27], s[24:25], s[26:27]
	; wave barrier
	s_and_saveexec_b64 s[24:25], s[26:27]
	s_cbranch_execz .LBB40_58
; %bb.57:
	v_bcnt_u32_b32 v0, v0, 0
	v_bcnt_u32_b32 v0, v1, v0
	s_waitcnt lgkmcnt(0)
	v_add_u32_e32 v0, v41, v0
	ds_write_b32 v42, v0 offset:16
.LBB40_58:
	s_or_b64 exec, exec, s[24:25]
	v_and_b32_sdwa v1, v21, v3 dst_sel:DWORD dst_unused:UNUSED_PAD src0_sel:BYTE_1 src1_sel:DWORD
	v_lshlrev_b32_sdwa v0, v2, v21 dst_sel:DWORD dst_unused:UNUSED_PAD src0_sel:DWORD src1_sel:BYTE_1
	v_add_co_u32_e64 v2, s[24:25], -1, v1
	v_addc_co_u32_e64 v3, s[24:25], 0, -1, s[24:25]
	v_cmp_ne_u32_e64 s[24:25], 0, v1
	v_xor_b32_e32 v1, s25, v3
	v_add_u32_e32 v45, v10, v0
	v_mov_b32_e32 v0, 0
	v_and_b32_e32 v3, exec_hi, v1
	v_lshlrev_b32_sdwa v1, v46, v21 dst_sel:DWORD dst_unused:UNUSED_PAD src0_sel:DWORD src1_sel:BYTE_1
	v_xor_b32_e32 v2, s24, v2
	v_cmp_gt_i64_e64 s[24:25], 0, v[0:1]
	v_not_b32_e32 v1, v1
	v_ashrrev_i32_e32 v1, 31, v1
	v_and_b32_e32 v2, exec_lo, v2
	v_xor_b32_e32 v46, s25, v1
	v_xor_b32_e32 v1, s24, v1
	v_and_b32_e32 v2, v2, v1
	v_lshlrev_b32_sdwa v1, v47, v21 dst_sel:DWORD dst_unused:UNUSED_PAD src0_sel:DWORD src1_sel:BYTE_1
	v_cmp_gt_i64_e64 s[24:25], 0, v[0:1]
	v_not_b32_e32 v1, v1
	v_ashrrev_i32_e32 v1, 31, v1
	v_and_b32_e32 v3, v3, v46
	v_xor_b32_e32 v46, s25, v1
	v_xor_b32_e32 v1, s24, v1
	v_and_b32_e32 v2, v2, v1
	v_lshlrev_b32_sdwa v1, v48, v21 dst_sel:DWORD dst_unused:UNUSED_PAD src0_sel:DWORD src1_sel:BYTE_1
	v_cmp_gt_i64_e64 s[24:25], 0, v[0:1]
	v_not_b32_e32 v1, v1
	v_ashrrev_i32_e32 v1, 31, v1
	v_and_b32_e32 v3, v3, v46
	;; [unrolled: 8-line block ×5, first 2 shown]
	v_xor_b32_e32 v46, s25, v1
	v_xor_b32_e32 v1, s24, v1
	v_and_b32_e32 v3, v3, v46
	v_and_b32_e32 v46, v2, v1
	v_lshlrev_b32_sdwa v1, v52, v21 dst_sel:DWORD dst_unused:UNUSED_PAD src0_sel:DWORD src1_sel:BYTE_1
	v_cmp_gt_i64_e64 s[24:25], 0, v[0:1]
	v_not_b32_e32 v1, v1
	v_ashrrev_i32_e32 v1, 31, v1
	v_xor_b32_e32 v2, s25, v1
	v_xor_b32_e32 v1, s24, v1
	; wave barrier
	ds_read_b32 v44, v45 offset:16
	v_and_b32_e32 v1, v46, v1
	v_and_b32_e32 v2, v3, v2
	v_mbcnt_lo_u32_b32 v3, v1, 0
	v_mbcnt_hi_u32_b32 v46, v2, v3
	v_cmp_ne_u64_e64 s[24:25], 0, v[1:2]
	v_cmp_eq_u32_e64 s[26:27], 0, v46
	s_and_b64 s[26:27], s[24:25], s[26:27]
	; wave barrier
	s_and_saveexec_b64 s[24:25], s[26:27]
	s_cbranch_execz .LBB40_60
; %bb.59:
	v_bcnt_u32_b32 v1, v1, 0
	v_bcnt_u32_b32 v1, v2, v1
	s_waitcnt lgkmcnt(0)
	v_add_u32_e32 v1, v44, v1
	ds_write_b32 v45, v1 offset:16
.LBB40_60:
	s_or_b64 exec, exec, s[24:25]
	v_mov_b32_e32 v1, 4
	v_lshlrev_b32_sdwa v1, v1, v17 dst_sel:DWORD dst_unused:UNUSED_PAD src0_sel:DWORD src1_sel:BYTE_1
	v_add_u32_e32 v47, v10, v1
	v_mov_b32_e32 v1, 1
	v_and_b32_sdwa v1, v17, v1 dst_sel:DWORD dst_unused:UNUSED_PAD src0_sel:BYTE_1 src1_sel:DWORD
	v_add_co_u32_e64 v2, s[24:25], -1, v1
	v_addc_co_u32_e64 v3, s[24:25], 0, -1, s[24:25]
	v_cmp_ne_u32_e64 s[24:25], 0, v1
	v_xor_b32_e32 v1, s25, v3
	v_and_b32_e32 v3, exec_hi, v1
	v_mov_b32_e32 v1, 30
	v_lshlrev_b32_sdwa v1, v1, v17 dst_sel:DWORD dst_unused:UNUSED_PAD src0_sel:DWORD src1_sel:BYTE_1
	v_xor_b32_e32 v2, s24, v2
	v_cmp_gt_i64_e64 s[24:25], 0, v[0:1]
	v_not_b32_e32 v1, v1
	v_ashrrev_i32_e32 v1, 31, v1
	v_and_b32_e32 v2, exec_lo, v2
	v_xor_b32_e32 v48, s25, v1
	v_xor_b32_e32 v1, s24, v1
	v_and_b32_e32 v2, v2, v1
	v_mov_b32_e32 v1, 29
	v_lshlrev_b32_sdwa v1, v1, v17 dst_sel:DWORD dst_unused:UNUSED_PAD src0_sel:DWORD src1_sel:BYTE_1
	v_cmp_gt_i64_e64 s[24:25], 0, v[0:1]
	v_not_b32_e32 v1, v1
	v_ashrrev_i32_e32 v1, 31, v1
	v_and_b32_e32 v3, v3, v48
	v_xor_b32_e32 v48, s25, v1
	v_xor_b32_e32 v1, s24, v1
	v_and_b32_e32 v2, v2, v1
	v_mov_b32_e32 v1, 28
	v_lshlrev_b32_sdwa v1, v1, v17 dst_sel:DWORD dst_unused:UNUSED_PAD src0_sel:DWORD src1_sel:BYTE_1
	v_cmp_gt_i64_e64 s[24:25], 0, v[0:1]
	v_not_b32_e32 v1, v1
	v_ashrrev_i32_e32 v1, 31, v1
	v_and_b32_e32 v3, v3, v48
	;; [unrolled: 9-line block ×5, first 2 shown]
	v_xor_b32_e32 v48, s25, v1
	v_xor_b32_e32 v1, s24, v1
	v_and_b32_e32 v2, v2, v1
	v_mov_b32_e32 v1, 24
	v_lshlrev_b32_sdwa v1, v1, v17 dst_sel:DWORD dst_unused:UNUSED_PAD src0_sel:DWORD src1_sel:BYTE_1
	v_cmp_gt_i64_e64 s[24:25], 0, v[0:1]
	v_not_b32_e32 v0, v1
	v_ashrrev_i32_e32 v0, 31, v0
	v_xor_b32_e32 v1, s25, v0
	v_xor_b32_e32 v0, s24, v0
	; wave barrier
	ds_read_b32 v10, v47 offset:16
	v_and_b32_e32 v3, v3, v48
	v_and_b32_e32 v0, v2, v0
	;; [unrolled: 1-line block ×3, first 2 shown]
	v_mbcnt_lo_u32_b32 v2, v0, 0
	v_mbcnt_hi_u32_b32 v48, v1, v2
	v_cmp_ne_u64_e64 s[24:25], 0, v[0:1]
	v_cmp_eq_u32_e64 s[26:27], 0, v48
	s_and_b64 s[26:27], s[24:25], s[26:27]
	; wave barrier
	s_and_saveexec_b64 s[24:25], s[26:27]
	s_cbranch_execz .LBB40_62
; %bb.61:
	v_bcnt_u32_b32 v0, v0, 0
	v_bcnt_u32_b32 v0, v1, v0
	s_waitcnt lgkmcnt(0)
	v_add_u32_e32 v0, v10, v0
	ds_write_b32 v47, v0 offset:16
.LBB40_62:
	s_or_b64 exec, exec, s[24:25]
	; wave barrier
	s_waitcnt lgkmcnt(0)
	s_barrier
	ds_read2_b64 v[0:3], v15 offset0:2 offset1:3
	s_waitcnt lgkmcnt(0)
	v_add_u32_e32 v49, v1, v0
	v_add3_u32 v3, v49, v2, v3
	s_nop 1
	v_mov_b32_dpp v49, v3 row_shr:1 row_mask:0xf bank_mask:0xf
	v_cndmask_b32_e64 v49, v49, 0, s[8:9]
	v_add_u32_e32 v3, v49, v3
	s_nop 1
	v_mov_b32_dpp v49, v3 row_shr:2 row_mask:0xf bank_mask:0xf
	v_cndmask_b32_e64 v49, 0, v49, s[10:11]
	v_add_u32_e32 v3, v3, v49
	;; [unrolled: 4-line block ×4, first 2 shown]
	s_nop 1
	v_mov_b32_dpp v49, v3 row_bcast:15 row_mask:0xf bank_mask:0xf
	v_cndmask_b32_e64 v49, v49, 0, s[0:1]
	v_add_u32_e32 v3, v3, v49
	s_nop 1
	v_mov_b32_dpp v49, v3 row_bcast:31 row_mask:0xf bank_mask:0xf
	v_cndmask_b32_e64 v49, 0, v49, s[18:19]
	v_add_u32_e32 v3, v3, v49
	s_and_saveexec_b64 s[0:1], vcc
; %bb.63:
	ds_write_b32 v16, v3
; %bb.64:
	s_or_b64 exec, exec, s[0:1]
	s_waitcnt lgkmcnt(0)
	s_barrier
	s_and_saveexec_b64 s[0:1], s[12:13]
	s_cbranch_execz .LBB40_66
; %bb.65:
	ds_read_b32 v16, v19
	s_waitcnt lgkmcnt(0)
	s_nop 0
	v_mov_b32_dpp v49, v16 row_shr:1 row_mask:0xf bank_mask:0xf
	v_cndmask_b32_e64 v49, v49, 0, s[6:7]
	v_add_u32_e32 v16, v49, v16
	s_nop 1
	v_mov_b32_dpp v49, v16 row_shr:2 row_mask:0xf bank_mask:0xf
	v_cndmask_b32_e64 v49, 0, v49, s[4:5]
	v_add_u32_e32 v16, v16, v49
	ds_write_b32 v19, v16
.LBB40_66:
	s_or_b64 exec, exec, s[0:1]
	v_mov_b32_e32 v16, 0
	s_waitcnt lgkmcnt(0)
	s_barrier
	s_and_saveexec_b64 s[0:1], s[20:21]
; %bb.67:
	ds_read_b32 v16, v20
; %bb.68:
	s_or_b64 exec, exec, s[0:1]
	s_waitcnt lgkmcnt(0)
	v_add_u32_e32 v3, v16, v3
	ds_bpermute_b32 v3, v18, v3
	s_waitcnt lgkmcnt(0)
	v_cndmask_b32_e64 v3, v3, v16, s[2:3]
	v_cndmask_b32_e64 v18, v3, 0, s[22:23]
	v_add_u32_e32 v19, v18, v0
	v_add_u32_e32 v0, v19, v1
	;; [unrolled: 1-line block ×3, first 2 shown]
	ds_write2_b64 v15, v[18:19], v[0:1] offset0:2 offset1:3
	s_waitcnt lgkmcnt(0)
	s_barrier
	ds_read_b32 v0, v47 offset:16
	ds_read_b32 v1, v5 offset:16
	ds_read_b32 v2, v45 offset:16
	s_waitcnt lgkmcnt(2)
	v_add3_u32 v0, v48, v10, v0
	ds_read_b32 v3, v42 offset:16
	ds_read_b32 v5, v39 offset:16
	ds_read_b32 v10, v36 offset:16
	ds_read_b32 v15, v33 offset:16
	s_waitcnt lgkmcnt(5)
	v_add_u32_e32 v1, v1, v4
	s_waitcnt lgkmcnt(3)
	v_add3_u32 v16, v43, v41, v3
	v_lshlrev_b32_e32 v3, 1, v1
	s_waitcnt lgkmcnt(1)
	v_add3_u32 v19, v37, v35, v10
	s_waitcnt lgkmcnt(0)
	v_add3_u32 v15, v34, v32, v15
	s_barrier
	ds_write_b16 v3, v31
	v_lshlrev_b32_e32 v3, 1, v15
	v_add3_u32 v18, v40, v38, v5
	ds_write_b16 v3, v30
	v_lshlrev_b32_e32 v3, 1, v19
	ds_write_b16 v3, v29
	v_lshlrev_b32_e32 v3, 1, v18
	v_add3_u32 v2, v46, v44, v2
	ds_write_b16 v3, v28
	v_lshlrev_b32_e32 v3, 1, v16
	ds_write_b16 v3, v22
	v_lshlrev_b32_e32 v3, 1, v2
	;; [unrolled: 2-line block ×3, first 2 shown]
	ds_write_b16 v3, v17
	s_waitcnt lgkmcnt(0)
	s_barrier
	ds_read_b96 v[3:5], v14
	ds_read_u16 v10, v14 offset:12
	s_waitcnt lgkmcnt(0)
	s_barrier
	ds_write_b8 v1, v11
	ds_write_b8 v15, v12
	;; [unrolled: 1-line block ×7, first 2 shown]
	s_waitcnt lgkmcnt(0)
	s_barrier
.LBB40_69:
	s_waitcnt lgkmcnt(0)
	ds_read_b32 v0, v13
	ds_read_u8 v1, v13 offset:4
	ds_read_u8 v2, v13 offset:5
	ds_read_u8 v11, v13 offset:6
	s_mov_b32 s0, 0xc0c0004
	global_store_short v[8:9], v10, off offset:12
	global_store_dwordx3 v[8:9], v[3:5], off
	s_waitcnt lgkmcnt(1)
	v_perm_b32 v1, v1, v2, s0
	s_waitcnt lgkmcnt(0)
	global_store_byte v[6:7], v11, off offset:6
	global_store_short v[6:7], v1, off offset:4
	global_store_dword v[6:7], v0, off
	s_endpgm
	.section	.rodata,"a",@progbits
	.p2align	6, 0x0
	.amdhsa_kernel _Z21sort_key_value_kernelILj256ELj7ELb0ELb0EtcEvPT3_PT4_jj
		.amdhsa_group_segment_fixed_size 4112
		.amdhsa_private_segment_fixed_size 0
		.amdhsa_kernarg_size 280
		.amdhsa_user_sgpr_count 6
		.amdhsa_user_sgpr_private_segment_buffer 1
		.amdhsa_user_sgpr_dispatch_ptr 0
		.amdhsa_user_sgpr_queue_ptr 0
		.amdhsa_user_sgpr_kernarg_segment_ptr 1
		.amdhsa_user_sgpr_dispatch_id 0
		.amdhsa_user_sgpr_flat_scratch_init 0
		.amdhsa_user_sgpr_private_segment_size 0
		.amdhsa_uses_dynamic_stack 0
		.amdhsa_system_sgpr_private_segment_wavefront_offset 0
		.amdhsa_system_sgpr_workgroup_id_x 1
		.amdhsa_system_sgpr_workgroup_id_y 0
		.amdhsa_system_sgpr_workgroup_id_z 0
		.amdhsa_system_sgpr_workgroup_info 0
		.amdhsa_system_vgpr_workitem_id 2
		.amdhsa_next_free_vgpr 72
		.amdhsa_next_free_sgpr 42
		.amdhsa_reserve_vcc 1
		.amdhsa_reserve_flat_scratch 0
		.amdhsa_float_round_mode_32 0
		.amdhsa_float_round_mode_16_64 0
		.amdhsa_float_denorm_mode_32 3
		.amdhsa_float_denorm_mode_16_64 3
		.amdhsa_dx10_clamp 1
		.amdhsa_ieee_mode 1
		.amdhsa_fp16_overflow 0
		.amdhsa_exception_fp_ieee_invalid_op 0
		.amdhsa_exception_fp_denorm_src 0
		.amdhsa_exception_fp_ieee_div_zero 0
		.amdhsa_exception_fp_ieee_overflow 0
		.amdhsa_exception_fp_ieee_underflow 0
		.amdhsa_exception_fp_ieee_inexact 0
		.amdhsa_exception_int_div_zero 0
	.end_amdhsa_kernel
	.section	.text._Z21sort_key_value_kernelILj256ELj7ELb0ELb0EtcEvPT3_PT4_jj,"axG",@progbits,_Z21sort_key_value_kernelILj256ELj7ELb0ELb0EtcEvPT3_PT4_jj,comdat
.Lfunc_end40:
	.size	_Z21sort_key_value_kernelILj256ELj7ELb0ELb0EtcEvPT3_PT4_jj, .Lfunc_end40-_Z21sort_key_value_kernelILj256ELj7ELb0ELb0EtcEvPT3_PT4_jj
                                        ; -- End function
	.set _Z21sort_key_value_kernelILj256ELj7ELb0ELb0EtcEvPT3_PT4_jj.num_vgpr, 72
	.set _Z21sort_key_value_kernelILj256ELj7ELb0ELb0EtcEvPT3_PT4_jj.num_agpr, 0
	.set _Z21sort_key_value_kernelILj256ELj7ELb0ELb0EtcEvPT3_PT4_jj.numbered_sgpr, 42
	.set _Z21sort_key_value_kernelILj256ELj7ELb0ELb0EtcEvPT3_PT4_jj.num_named_barrier, 0
	.set _Z21sort_key_value_kernelILj256ELj7ELb0ELb0EtcEvPT3_PT4_jj.private_seg_size, 0
	.set _Z21sort_key_value_kernelILj256ELj7ELb0ELb0EtcEvPT3_PT4_jj.uses_vcc, 1
	.set _Z21sort_key_value_kernelILj256ELj7ELb0ELb0EtcEvPT3_PT4_jj.uses_flat_scratch, 0
	.set _Z21sort_key_value_kernelILj256ELj7ELb0ELb0EtcEvPT3_PT4_jj.has_dyn_sized_stack, 0
	.set _Z21sort_key_value_kernelILj256ELj7ELb0ELb0EtcEvPT3_PT4_jj.has_recursion, 0
	.set _Z21sort_key_value_kernelILj256ELj7ELb0ELb0EtcEvPT3_PT4_jj.has_indirect_call, 0
	.section	.AMDGPU.csdata,"",@progbits
; Kernel info:
; codeLenInByte = 12180
; TotalNumSgprs: 46
; NumVgprs: 72
; ScratchSize: 0
; MemoryBound: 0
; FloatMode: 240
; IeeeMode: 1
; LDSByteSize: 4112 bytes/workgroup (compile time only)
; SGPRBlocks: 5
; VGPRBlocks: 17
; NumSGPRsForWavesPerEU: 46
; NumVGPRsForWavesPerEU: 72
; Occupancy: 3
; WaveLimiterHint : 0
; COMPUTE_PGM_RSRC2:SCRATCH_EN: 0
; COMPUTE_PGM_RSRC2:USER_SGPR: 6
; COMPUTE_PGM_RSRC2:TRAP_HANDLER: 0
; COMPUTE_PGM_RSRC2:TGID_X_EN: 1
; COMPUTE_PGM_RSRC2:TGID_Y_EN: 0
; COMPUTE_PGM_RSRC2:TGID_Z_EN: 0
; COMPUTE_PGM_RSRC2:TIDIG_COMP_CNT: 2
	.section	.text._Z21sort_key_value_kernelILj128ELj4ELb0ELb0EisEvPT3_PT4_jj,"axG",@progbits,_Z21sort_key_value_kernelILj128ELj4ELb0ELb0EisEvPT3_PT4_jj,comdat
	.protected	_Z21sort_key_value_kernelILj128ELj4ELb0ELb0EisEvPT3_PT4_jj ; -- Begin function _Z21sort_key_value_kernelILj128ELj4ELb0ELb0EisEvPT3_PT4_jj
	.globl	_Z21sort_key_value_kernelILj128ELj4ELb0ELb0EisEvPT3_PT4_jj
	.p2align	8
	.type	_Z21sort_key_value_kernelILj128ELj4ELb0ELb0EisEvPT3_PT4_jj,@function
_Z21sort_key_value_kernelILj128ELj4ELb0ELb0EisEvPT3_PT4_jj: ; @_Z21sort_key_value_kernelILj128ELj4ELb0ELb0EisEvPT3_PT4_jj
; %bb.0:
	s_load_dwordx4 s[0:3], s[4:5], 0x0
	s_load_dwordx2 s[42:43], s[4:5], 0x10
	s_mov_b32 s44, 0
	s_lshl_b32 s6, s6, 9
	s_mov_b32 s7, s44
	s_lshl_b64 s[8:9], s[6:7], 2
	s_waitcnt lgkmcnt(0)
	s_add_u32 s38, s0, s8
	s_addc_u32 s39, s1, s9
	s_lshl_b64 s[0:1], s[6:7], 1
	s_add_u32 s40, s2, s0
	v_lshlrev_b32_e32 v9, 4, v0
	s_addc_u32 s41, s3, s1
	v_lshlrev_b32_e32 v10, 3, v0
	global_load_dwordx4 v[3:6], v9, s[38:39]
	global_load_dwordx2 v[34:35], v10, s[40:41]
	v_mbcnt_lo_u32_b32 v8, -1, 0
	v_mbcnt_hi_u32_b32 v16, -1, v8
	s_cmp_lg_u32 s42, 0
	v_lshrrev_b32_e32 v8, 2, v16
	v_and_b32_e32 v19, 64, v16
	v_and_b32_e32 v11, 3, v16
	s_cselect_b64 s[20:21], -1, 0
	s_cmp_lg_u32 s43, 32
	v_cmp_eq_u32_e64 s[0:1], 3, v11
	v_cmp_eq_u32_e64 s[2:3], 2, v11
	;; [unrolled: 1-line block ×4, first 2 shown]
	v_or_b32_e32 v11, v8, v19
	s_cselect_b64 s[22:23], -1, 0
	v_lshlrev_b32_e32 v13, 2, v0
	v_lshlrev_b32_e32 v28, 2, v11
	s_or_b64 s[20:21], s[20:21], s[22:23]
	s_mov_b32 s18, 0xffff
	v_mov_b32_e32 v7, 0
	v_or_b32_e32 v18, 63, v0
	v_cmp_gt_u32_e64 s[10:11], 2, v0
	v_cmp_lt_u32_e64 s[12:13], 63, v0
	v_cmp_eq_u32_e64 s[14:15], 0, v0
	v_lshrrev_b32_e32 v17, 4, v0
	v_mul_i32_i24_e32 v15, -12, v0
	v_lshlrev_b32_e32 v14, 2, v13
	v_and_b32_e32 v21, 15, v16
	v_and_b32_e32 v22, 16, v16
	v_cmp_lt_u32_e64 s[16:17], 31, v16
	v_and_b32_e32 v20, 1, v16
	v_add_u32_e32 v12, 48, v8
	v_add_u32_e32 v27, 64, v28
	v_mov_b32_e32 v33, s39
	v_mov_b32_e32 v32, s41
	s_and_b64 vcc, exec, s[20:21]
	s_waitcnt vmcnt(1)
	v_xor_b32_e32 v31, 0x80000000, v3
	v_xor_b32_e32 v30, 0x80000000, v4
	;; [unrolled: 1-line block ×4, first 2 shown]
	s_waitcnt vmcnt(0)
	v_lshrrev_b32_e32 v25, 16, v34
	v_lshrrev_b32_e32 v23, 16, v35
	v_and_b32_e32 v26, 0xffff, v34
	v_and_b32_e32 v24, 0xffff, v35
	s_cbranch_vccz .LBB41_19
; %bb.1:
	ds_bpermute_b32 v3, v28, v31
	ds_bpermute_b32 v4, v28, v30
	;; [unrolled: 1-line block ×5, first 2 shown]
	s_waitcnt lgkmcnt(4)
	v_cndmask_b32_e64 v3, 0, v3, s[8:9]
	s_waitcnt lgkmcnt(3)
	v_cndmask_b32_e64 v3, v3, v4, s[6:7]
	;; [unrolled: 2-line block ×3, first 2 shown]
	ds_bpermute_b32 v5, v27, v30
	s_waitcnt lgkmcnt(2)
	v_cndmask_b32_e64 v3, v3, v6, s[0:1]
	ds_bpermute_b32 v6, v27, v29
	s_waitcnt lgkmcnt(2)
	v_cndmask_b32_e64 v4, 0, v8, s[8:9]
	ds_bpermute_b32 v8, v27, v11
	v_xor_b32_e32 v34, 0x80, v28
	ds_bpermute_b32 v35, v34, v31
	ds_bpermute_b32 v36, v34, v30
	s_waitcnt lgkmcnt(4)
	v_cndmask_b32_e64 v4, v4, v5, s[6:7]
	s_waitcnt lgkmcnt(3)
	v_cndmask_b32_e64 v4, v4, v6, s[2:3]
	ds_bpermute_b32 v6, v34, v29
	s_waitcnt lgkmcnt(3)
	v_cndmask_b32_e64 v4, v4, v8, s[0:1]
	ds_bpermute_b32 v8, v34, v11
	s_waitcnt lgkmcnt(3)
	v_cndmask_b32_e64 v5, 0, v35, s[8:9]
	v_and_or_b32 v35, v12, 63, v19
	v_lshlrev_b32_e32 v35, 2, v35
	s_waitcnt lgkmcnt(2)
	v_cndmask_b32_e64 v5, v5, v36, s[6:7]
	ds_bpermute_b32 v36, v35, v31
	s_waitcnt lgkmcnt(2)
	v_cndmask_b32_e64 v5, v5, v6, s[2:3]
	ds_bpermute_b32 v6, v35, v30
	;; [unrolled: 3-line block ×3, first 2 shown]
	ds_bpermute_b32 v37, v35, v11
	s_waitcnt lgkmcnt(3)
	v_cndmask_b32_e64 v36, 0, v36, s[8:9]
	ds_bpermute_b32 v38, v28, v26
	s_waitcnt lgkmcnt(3)
	v_cndmask_b32_e64 v6, v36, v6, s[6:7]
	s_waitcnt lgkmcnt(2)
	v_cndmask_b32_e64 v6, v6, v8, s[2:3]
	ds_bpermute_b32 v8, v28, v25
	s_waitcnt lgkmcnt(2)
	v_cndmask_b32_e64 v6, v6, v37, s[0:1]
	ds_bpermute_b32 v37, v28, v24
	s_waitcnt lgkmcnt(2)
	v_and_b32_e32 v36, 0xffff, v38
	ds_bpermute_b32 v38, v28, v23
	v_cndmask_b32_e64 v36, 0, v36, s[8:9]
	s_waitcnt lgkmcnt(2)
	v_and_b32_e32 v8, 0xffff, v8
	v_cndmask_b32_e64 v8, v36, v8, s[6:7]
	s_waitcnt lgkmcnt(1)
	v_and_b32_e32 v36, 0xffff, v37
	v_cndmask_b32_e64 v8, v8, v36, s[2:3]
	ds_bpermute_b32 v36, v27, v26
	s_waitcnt lgkmcnt(1)
	v_and_b32_e32 v37, 0xffff, v38
	v_cndmask_b32_e64 v8, v8, v37, s[0:1]
	ds_bpermute_b32 v37, v27, v25
	s_mov_b32 s33, 0x5040100
	ds_bpermute_b32 v38, v27, v24
	s_waitcnt lgkmcnt(2)
	v_perm_b32 v36, v36, v8, s33
	v_cndmask_b32_e64 v8, v8, v36, s[8:9]
	s_waitcnt lgkmcnt(1)
	v_perm_b32 v36, v37, v8, s33
	ds_bpermute_b32 v37, v27, v23
	v_cndmask_b32_e64 v8, v8, v36, s[6:7]
	s_waitcnt lgkmcnt(1)
	v_perm_b32 v36, v38, v8, s33
	ds_bpermute_b32 v38, v34, v26
	;; [unrolled: 4-line block ×3, first 2 shown]
	v_cndmask_b32_e64 v8, v8, v36, s[0:1]
	s_waitcnt lgkmcnt(1)
	v_and_b32_e32 v36, 0xffff, v38
	ds_bpermute_b32 v38, v34, v24
	v_cndmask_b32_e64 v36, 0, v36, s[8:9]
	s_waitcnt lgkmcnt(1)
	v_bfi_b32 v37, s18, v37, v36
	ds_bpermute_b32 v34, v34, v23
	v_cndmask_b32_e64 v36, v36, v37, s[6:7]
	s_waitcnt lgkmcnt(1)
	v_bfi_b32 v37, s18, v38, v36
	ds_bpermute_b32 v38, v35, v26
	v_cndmask_b32_e64 v36, v36, v37, s[2:3]
	ds_bpermute_b32 v37, v35, v25
	s_waitcnt lgkmcnt(2)
	v_bfi_b32 v34, s18, v34, v36
	v_cndmask_b32_e64 v34, v36, v34, s[0:1]
	s_waitcnt lgkmcnt(1)
	v_perm_b32 v36, v38, v34, s33
	v_cndmask_b32_e64 v34, v34, v36, s[8:9]
	s_waitcnt lgkmcnt(0)
	v_perm_b32 v36, v37, v34, s33
	v_cndmask_b32_e64 v34, v34, v36, s[6:7]
	ds_bpermute_b32 v36, v35, v24
	ds_bpermute_b32 v35, v35, v23
	s_waitcnt lgkmcnt(0)
	s_barrier
	s_load_dword s18, s[4:5], 0x24
	v_perm_b32 v36, v36, v34, s33
	v_cndmask_b32_e64 v34, v34, v36, s[2:3]
	v_perm_b32 v35, v35, v34, s33
	v_cndmask_b32_e64 v55, v34, v35, s[0:1]
	s_waitcnt lgkmcnt(0)
	s_lshr_b32 s19, s18, 16
	s_and_b32 s18, s18, 0xffff
	v_mad_u32_u24 v34, v2, s19, v1
	s_movk_i32 s36, 0x100
	v_mad_u32_u24 v37, v34, s18, v0
	v_subrev_co_u32_e64 v34, s[30:31], 1, v16
	v_and_or_b32 v39, v13, s36, v16
	v_cmp_lt_i32_e32 vcc, v34, v19
	v_lshlrev_b32_e32 v38, 2, v39
	v_lshlrev_b32_e32 v39, 1, v39
	v_cndmask_b32_e32 v34, v34, v16, vcc
	v_and_b32_e32 v35, 4, v17
	v_sub_u32_e32 v40, 0, v39
	v_lshrrev_b32_e32 v37, 4, v37
	v_cmp_eq_u32_e64 s[18:19], 0, v21
	v_cmp_lt_u32_e64 s[20:21], 1, v21
	v_cmp_lt_u32_e64 s[22:23], 3, v21
	;; [unrolled: 1-line block ×3, first 2 shown]
	v_cmp_eq_u32_e64 s[26:27], 0, v22
	v_cmp_eq_u32_e64 s[28:29], v0, v18
	v_lshlrev_b32_e32 v34, 2, v34
	v_cmp_eq_u32_e64 s[34:35], 0, v20
	v_add_u32_e32 v36, -4, v35
	v_and_b32_e32 v39, 0xffffffc, v37
	s_sub_i32 s39, s43, s42
	s_mov_b32 s45, s44
	s_mov_b32 s46, s44
	;; [unrolled: 1-line block ×3, first 2 shown]
	v_add_u32_e32 v41, v38, v40
	v_add_u32_e32 v42, v14, v15
	s_branch .LBB41_3
.LBB41_2:                               ;   in Loop: Header=BB41_3 Depth=1
	s_andn2_b64 vcc, exec, s[36:37]
	s_mov_b32 s39, s41
	s_cbranch_vccz .LBB41_20
.LBB41_3:                               ; =>This Inner Loop Header: Depth=1
	v_mov_b32_e32 v43, v6
	v_mov_b32_e32 v44, v5
	;; [unrolled: 1-line block ×4, first 2 shown]
	s_min_u32 s36, s39, 8
	v_mov_b32_e32 v3, s44
	v_mov_b32_e32 v5, s46
	;; [unrolled: 1-line block ×4, first 2 shown]
	s_lshl_b32 s36, -1, s36
	ds_write2_b64 v14, v[3:4], v[5:6] offset0:1 offset1:2
	s_not_b32 s41, s36
	v_lshrrev_b32_e32 v3, s42, v46
	v_and_b32_e32 v3, s41, v3
	v_and_b32_e32 v4, 1, v3
	v_add_co_u32_e32 v6, vcc, -1, v4
	v_mov_b32_e32 v40, v8
	v_addc_co_u32_e64 v8, s[36:37], 0, -1, vcc
	v_cmp_ne_u32_e32 vcc, 0, v4
	v_xor_b32_e32 v4, vcc_hi, v8
	v_lshlrev_b32_e32 v8, 30, v3
	v_xor_b32_e32 v6, vcc_lo, v6
	v_cmp_gt_i64_e32 vcc, 0, v[7:8]
	v_not_b32_e32 v8, v8
	v_ashrrev_i32_e32 v8, 31, v8
	v_and_b32_e32 v6, exec_lo, v6
	v_xor_b32_e32 v47, vcc_hi, v8
	v_xor_b32_e32 v8, vcc_lo, v8
	v_and_b32_e32 v6, v6, v8
	v_lshlrev_b32_e32 v8, 29, v3
	v_cmp_gt_i64_e32 vcc, 0, v[7:8]
	v_not_b32_e32 v8, v8
	v_and_b32_e32 v4, exec_hi, v4
	v_ashrrev_i32_e32 v8, 31, v8
	v_and_b32_e32 v4, v4, v47
	v_xor_b32_e32 v47, vcc_hi, v8
	v_xor_b32_e32 v8, vcc_lo, v8
	v_and_b32_e32 v6, v6, v8
	v_lshlrev_b32_e32 v8, 28, v3
	v_cmp_gt_i64_e32 vcc, 0, v[7:8]
	v_not_b32_e32 v8, v8
	v_ashrrev_i32_e32 v8, 31, v8
	v_and_b32_e32 v4, v4, v47
	v_xor_b32_e32 v47, vcc_hi, v8
	v_xor_b32_e32 v8, vcc_lo, v8
	v_and_b32_e32 v6, v6, v8
	v_lshlrev_b32_e32 v8, 27, v3
	v_cmp_gt_i64_e32 vcc, 0, v[7:8]
	v_not_b32_e32 v8, v8
	;; [unrolled: 8-line block ×4, first 2 shown]
	v_ashrrev_i32_e32 v8, 31, v8
	v_and_b32_e32 v4, v4, v47
	v_xor_b32_e32 v47, vcc_hi, v8
	v_xor_b32_e32 v8, vcc_lo, v8
	v_and_b32_e32 v6, v6, v8
	v_lshlrev_b32_e32 v8, 24, v3
	v_lshlrev_b32_e32 v5, 3, v3
	v_cmp_gt_i64_e32 vcc, 0, v[7:8]
	v_not_b32_e32 v3, v8
	v_ashrrev_i32_e32 v3, 31, v3
	v_xor_b32_e32 v8, vcc_hi, v3
	v_xor_b32_e32 v3, vcc_lo, v3
	v_and_b32_e32 v4, v4, v47
	v_and_b32_e32 v3, v6, v3
	;; [unrolled: 1-line block ×3, first 2 shown]
	v_mbcnt_lo_u32_b32 v6, v3, 0
	v_mbcnt_hi_u32_b32 v47, v4, v6
	v_cmp_ne_u64_e32 vcc, 0, v[3:4]
	v_cmp_eq_u32_e64 s[36:37], 0, v47
	v_mov_b32_e32 v37, v55
	s_and_b64 s[48:49], vcc, s[36:37]
	v_add_u32_e32 v48, v39, v5
	s_waitcnt lgkmcnt(0)
	s_barrier
	; wave barrier
	s_and_saveexec_b64 s[36:37], s[48:49]
; %bb.4:                                ;   in Loop: Header=BB41_3 Depth=1
	v_bcnt_u32_b32 v3, v3, 0
	v_bcnt_u32_b32 v3, v4, v3
	ds_write_b32 v48, v3 offset:8
; %bb.5:                                ;   in Loop: Header=BB41_3 Depth=1
	s_or_b64 exec, exec, s[36:37]
	v_lshrrev_b32_e32 v3, s42, v45
	v_and_b32_e32 v3, s41, v3
	v_lshlrev_b32_e32 v4, 3, v3
	v_add_u32_e32 v50, v39, v4
	v_and_b32_e32 v4, 1, v3
	v_add_co_u32_e32 v5, vcc, -1, v4
	v_addc_co_u32_e64 v6, s[36:37], 0, -1, vcc
	v_cmp_ne_u32_e32 vcc, 0, v4
	v_lshlrev_b32_e32 v8, 30, v3
	v_xor_b32_e32 v4, vcc_hi, v6
	v_xor_b32_e32 v5, vcc_lo, v5
	v_cmp_gt_i64_e32 vcc, 0, v[7:8]
	v_not_b32_e32 v6, v8
	v_ashrrev_i32_e32 v6, 31, v6
	v_and_b32_e32 v4, exec_hi, v4
	v_xor_b32_e32 v8, vcc_hi, v6
	v_and_b32_e32 v5, exec_lo, v5
	v_xor_b32_e32 v6, vcc_lo, v6
	v_and_b32_e32 v4, v4, v8
	v_lshlrev_b32_e32 v8, 29, v3
	v_and_b32_e32 v5, v5, v6
	v_cmp_gt_i64_e32 vcc, 0, v[7:8]
	v_not_b32_e32 v6, v8
	v_ashrrev_i32_e32 v6, 31, v6
	v_xor_b32_e32 v8, vcc_hi, v6
	v_xor_b32_e32 v6, vcc_lo, v6
	v_and_b32_e32 v4, v4, v8
	v_lshlrev_b32_e32 v8, 28, v3
	v_and_b32_e32 v5, v5, v6
	v_cmp_gt_i64_e32 vcc, 0, v[7:8]
	v_not_b32_e32 v6, v8
	v_ashrrev_i32_e32 v6, 31, v6
	v_xor_b32_e32 v8, vcc_hi, v6
	;; [unrolled: 8-line block ×5, first 2 shown]
	v_and_b32_e32 v4, v4, v8
	v_lshlrev_b32_e32 v8, 24, v3
	v_xor_b32_e32 v6, vcc_lo, v6
	v_cmp_gt_i64_e32 vcc, 0, v[7:8]
	v_not_b32_e32 v3, v8
	v_ashrrev_i32_e32 v3, 31, v3
	v_and_b32_e32 v5, v5, v6
	v_xor_b32_e32 v6, vcc_hi, v3
	v_xor_b32_e32 v3, vcc_lo, v3
	; wave barrier
	ds_read_b32 v49, v50 offset:8
	v_and_b32_e32 v3, v5, v3
	v_and_b32_e32 v4, v4, v6
	v_mbcnt_lo_u32_b32 v5, v3, 0
	v_mbcnt_hi_u32_b32 v51, v4, v5
	v_cmp_ne_u64_e32 vcc, 0, v[3:4]
	v_cmp_eq_u32_e64 s[36:37], 0, v51
	s_and_b64 s[48:49], vcc, s[36:37]
	; wave barrier
	s_and_saveexec_b64 s[36:37], s[48:49]
	s_cbranch_execz .LBB41_7
; %bb.6:                                ;   in Loop: Header=BB41_3 Depth=1
	v_bcnt_u32_b32 v3, v3, 0
	v_bcnt_u32_b32 v3, v4, v3
	s_waitcnt lgkmcnt(0)
	v_add_u32_e32 v3, v49, v3
	ds_write_b32 v50, v3 offset:8
.LBB41_7:                               ;   in Loop: Header=BB41_3 Depth=1
	s_or_b64 exec, exec, s[36:37]
	v_lshrrev_b32_e32 v3, s42, v44
	v_and_b32_e32 v3, s41, v3
	v_lshlrev_b32_e32 v4, 3, v3
	v_add_u32_e32 v53, v39, v4
	v_and_b32_e32 v4, 1, v3
	v_add_co_u32_e32 v5, vcc, -1, v4
	v_addc_co_u32_e64 v6, s[36:37], 0, -1, vcc
	v_cmp_ne_u32_e32 vcc, 0, v4
	v_lshlrev_b32_e32 v8, 30, v3
	v_xor_b32_e32 v4, vcc_hi, v6
	v_xor_b32_e32 v5, vcc_lo, v5
	v_cmp_gt_i64_e32 vcc, 0, v[7:8]
	v_not_b32_e32 v6, v8
	v_ashrrev_i32_e32 v6, 31, v6
	v_and_b32_e32 v4, exec_hi, v4
	v_xor_b32_e32 v8, vcc_hi, v6
	v_and_b32_e32 v5, exec_lo, v5
	v_xor_b32_e32 v6, vcc_lo, v6
	v_and_b32_e32 v4, v4, v8
	v_lshlrev_b32_e32 v8, 29, v3
	v_and_b32_e32 v5, v5, v6
	v_cmp_gt_i64_e32 vcc, 0, v[7:8]
	v_not_b32_e32 v6, v8
	v_ashrrev_i32_e32 v6, 31, v6
	v_xor_b32_e32 v8, vcc_hi, v6
	v_xor_b32_e32 v6, vcc_lo, v6
	v_and_b32_e32 v4, v4, v8
	v_lshlrev_b32_e32 v8, 28, v3
	v_and_b32_e32 v5, v5, v6
	v_cmp_gt_i64_e32 vcc, 0, v[7:8]
	v_not_b32_e32 v6, v8
	v_ashrrev_i32_e32 v6, 31, v6
	v_xor_b32_e32 v8, vcc_hi, v6
	;; [unrolled: 8-line block ×5, first 2 shown]
	v_and_b32_e32 v4, v4, v8
	v_lshlrev_b32_e32 v8, 24, v3
	v_xor_b32_e32 v6, vcc_lo, v6
	v_cmp_gt_i64_e32 vcc, 0, v[7:8]
	v_not_b32_e32 v3, v8
	v_ashrrev_i32_e32 v3, 31, v3
	v_and_b32_e32 v5, v5, v6
	v_xor_b32_e32 v6, vcc_hi, v3
	v_xor_b32_e32 v3, vcc_lo, v3
	; wave barrier
	ds_read_b32 v52, v53 offset:8
	v_and_b32_e32 v3, v5, v3
	v_and_b32_e32 v4, v4, v6
	v_mbcnt_lo_u32_b32 v5, v3, 0
	v_mbcnt_hi_u32_b32 v54, v4, v5
	v_cmp_ne_u64_e32 vcc, 0, v[3:4]
	v_cmp_eq_u32_e64 s[36:37], 0, v54
	s_and_b64 s[48:49], vcc, s[36:37]
	; wave barrier
	s_and_saveexec_b64 s[36:37], s[48:49]
	s_cbranch_execz .LBB41_9
; %bb.8:                                ;   in Loop: Header=BB41_3 Depth=1
	v_bcnt_u32_b32 v3, v3, 0
	v_bcnt_u32_b32 v3, v4, v3
	s_waitcnt lgkmcnt(0)
	v_add_u32_e32 v3, v52, v3
	ds_write_b32 v53, v3 offset:8
.LBB41_9:                               ;   in Loop: Header=BB41_3 Depth=1
	s_or_b64 exec, exec, s[36:37]
	v_lshrrev_b32_e32 v3, s42, v43
	v_and_b32_e32 v3, s41, v3
	v_lshlrev_b32_e32 v4, 3, v3
	v_add_u32_e32 v56, v39, v4
	v_and_b32_e32 v4, 1, v3
	v_add_co_u32_e32 v5, vcc, -1, v4
	v_addc_co_u32_e64 v6, s[36:37], 0, -1, vcc
	v_cmp_ne_u32_e32 vcc, 0, v4
	v_lshlrev_b32_e32 v8, 30, v3
	v_xor_b32_e32 v4, vcc_hi, v6
	v_xor_b32_e32 v5, vcc_lo, v5
	v_cmp_gt_i64_e32 vcc, 0, v[7:8]
	v_not_b32_e32 v6, v8
	v_ashrrev_i32_e32 v6, 31, v6
	v_and_b32_e32 v4, exec_hi, v4
	v_xor_b32_e32 v8, vcc_hi, v6
	v_and_b32_e32 v5, exec_lo, v5
	v_xor_b32_e32 v6, vcc_lo, v6
	v_and_b32_e32 v4, v4, v8
	v_lshlrev_b32_e32 v8, 29, v3
	v_and_b32_e32 v5, v5, v6
	v_cmp_gt_i64_e32 vcc, 0, v[7:8]
	v_not_b32_e32 v6, v8
	v_ashrrev_i32_e32 v6, 31, v6
	v_xor_b32_e32 v8, vcc_hi, v6
	v_xor_b32_e32 v6, vcc_lo, v6
	v_and_b32_e32 v4, v4, v8
	v_lshlrev_b32_e32 v8, 28, v3
	v_and_b32_e32 v5, v5, v6
	v_cmp_gt_i64_e32 vcc, 0, v[7:8]
	v_not_b32_e32 v6, v8
	v_ashrrev_i32_e32 v6, 31, v6
	v_xor_b32_e32 v8, vcc_hi, v6
	;; [unrolled: 8-line block ×5, first 2 shown]
	v_and_b32_e32 v4, v4, v8
	v_lshlrev_b32_e32 v8, 24, v3
	v_xor_b32_e32 v6, vcc_lo, v6
	v_cmp_gt_i64_e32 vcc, 0, v[7:8]
	v_not_b32_e32 v3, v8
	v_ashrrev_i32_e32 v3, 31, v3
	v_and_b32_e32 v5, v5, v6
	v_xor_b32_e32 v6, vcc_hi, v3
	v_xor_b32_e32 v3, vcc_lo, v3
	; wave barrier
	ds_read_b32 v55, v56 offset:8
	v_and_b32_e32 v3, v5, v3
	v_and_b32_e32 v4, v4, v6
	v_mbcnt_lo_u32_b32 v5, v3, 0
	v_mbcnt_hi_u32_b32 v8, v4, v5
	v_cmp_ne_u64_e32 vcc, 0, v[3:4]
	v_cmp_eq_u32_e64 s[36:37], 0, v8
	s_and_b64 s[48:49], vcc, s[36:37]
	; wave barrier
	s_and_saveexec_b64 s[36:37], s[48:49]
	s_cbranch_execz .LBB41_11
; %bb.10:                               ;   in Loop: Header=BB41_3 Depth=1
	v_bcnt_u32_b32 v3, v3, 0
	v_bcnt_u32_b32 v3, v4, v3
	s_waitcnt lgkmcnt(0)
	v_add_u32_e32 v3, v55, v3
	ds_write_b32 v56, v3 offset:8
.LBB41_11:                              ;   in Loop: Header=BB41_3 Depth=1
	s_or_b64 exec, exec, s[36:37]
	; wave barrier
	s_waitcnt lgkmcnt(0)
	s_barrier
	ds_read2_b64 v[3:6], v14 offset0:1 offset1:2
	s_waitcnt lgkmcnt(0)
	v_add_u32_e32 v57, v4, v3
	v_add3_u32 v6, v57, v5, v6
	s_nop 1
	v_mov_b32_dpp v57, v6 row_shr:1 row_mask:0xf bank_mask:0xf
	v_cndmask_b32_e64 v57, v57, 0, s[18:19]
	v_add_u32_e32 v6, v57, v6
	s_nop 1
	v_mov_b32_dpp v57, v6 row_shr:2 row_mask:0xf bank_mask:0xf
	v_cndmask_b32_e64 v57, 0, v57, s[20:21]
	v_add_u32_e32 v6, v6, v57
	;; [unrolled: 4-line block ×4, first 2 shown]
	s_nop 1
	v_mov_b32_dpp v57, v6 row_bcast:15 row_mask:0xf bank_mask:0xf
	v_cndmask_b32_e64 v57, v57, 0, s[26:27]
	v_add_u32_e32 v6, v6, v57
	s_nop 1
	v_mov_b32_dpp v57, v6 row_bcast:31 row_mask:0xf bank_mask:0xf
	v_cndmask_b32_e64 v57, 0, v57, s[16:17]
	v_add_u32_e32 v6, v6, v57
	s_and_saveexec_b64 s[36:37], s[28:29]
; %bb.12:                               ;   in Loop: Header=BB41_3 Depth=1
	ds_write_b32 v35, v6
; %bb.13:                               ;   in Loop: Header=BB41_3 Depth=1
	s_or_b64 exec, exec, s[36:37]
	s_waitcnt lgkmcnt(0)
	s_barrier
	s_and_saveexec_b64 s[36:37], s[10:11]
	s_cbranch_execz .LBB41_15
; %bb.14:                               ;   in Loop: Header=BB41_3 Depth=1
	ds_read_b32 v57, v42
	s_waitcnt lgkmcnt(0)
	s_nop 0
	v_mov_b32_dpp v58, v57 row_shr:1 row_mask:0xf bank_mask:0xf
	v_cndmask_b32_e64 v58, v58, 0, s[34:35]
	v_add_u32_e32 v57, v58, v57
	ds_write_b32 v42, v57
.LBB41_15:                              ;   in Loop: Header=BB41_3 Depth=1
	s_or_b64 exec, exec, s[36:37]
	v_mov_b32_e32 v57, 0
	s_waitcnt lgkmcnt(0)
	s_barrier
	s_and_saveexec_b64 s[36:37], s[12:13]
; %bb.16:                               ;   in Loop: Header=BB41_3 Depth=1
	ds_read_b32 v57, v36
; %bb.17:                               ;   in Loop: Header=BB41_3 Depth=1
	s_or_b64 exec, exec, s[36:37]
	s_waitcnt lgkmcnt(0)
	v_add_u32_e32 v6, v57, v6
	ds_bpermute_b32 v6, v34, v6
	s_add_i32 s42, s42, 8
	s_cmp_ge_u32 s42, s43
	s_mov_b64 s[36:37], -1
	v_readfirstlane_b32 s41, v0
	s_waitcnt lgkmcnt(0)
	v_cndmask_b32_e64 v6, v6, v57, s[30:31]
	v_cndmask_b32_e64 v57, v6, 0, s[14:15]
	v_add_u32_e32 v58, v57, v3
	v_add_u32_e32 v3, v58, v4
	v_add_u32_e32 v4, v3, v5
	ds_write2_b64 v14, v[57:58], v[3:4] offset0:1 offset1:2
	s_waitcnt lgkmcnt(0)
	s_barrier
	ds_read_b32 v3, v48 offset:8
	ds_read_b32 v4, v50 offset:8
	;; [unrolled: 1-line block ×4, first 2 shown]
	s_waitcnt lgkmcnt(0)
	v_add_u32_e32 v3, v3, v47
	v_add3_u32 v49, v51, v49, v4
	v_add3_u32 v48, v54, v52, v5
	;; [unrolled: 1-line block ×3, first 2 shown]
	v_lshlrev_b32_e32 v53, 2, v3
	v_lshlrev_b32_e32 v3, 1, v3
	;; [unrolled: 1-line block ×5, first 2 shown]
	v_sub_u32_e32 v54, 0, v3
                                        ; implicit-def: $vgpr6
                                        ; implicit-def: $vgpr4
                                        ; implicit-def: $vgpr55
                                        ; implicit-def: $vgpr8
	s_cbranch_scc1 .LBB41_2
; %bb.18:                               ;   in Loop: Header=BB41_3 Depth=1
	v_add_u32_e32 v8, v53, v54
	s_barrier
	ds_write_b32 v53, v46
	ds_write_b32 v52, v45
	;; [unrolled: 1-line block ×4, first 2 shown]
	s_waitcnt lgkmcnt(0)
	s_barrier
	ds_read2st64_b32 v[3:4], v38 offset1:1
	ds_read2st64_b32 v[5:6], v38 offset0:2 offset1:3
	s_waitcnt lgkmcnt(0)
	s_barrier
	ds_write_b16 v8, v40
	v_lshlrev_b32_e32 v8, 1, v49
	v_sub_u32_e32 v8, v52, v8
	ds_write_b16_d16_hi v8, v40
	v_lshlrev_b32_e32 v8, 1, v48
	v_sub_u32_e32 v8, v51, v8
	ds_write_b16 v8, v37
	v_lshlrev_b32_e32 v8, 1, v47
	v_sub_u32_e32 v8, v50, v8
	ds_write_b16_d16_hi v8, v37
	s_waitcnt lgkmcnt(0)
	s_barrier
	ds_read_u16 v8, v41
	ds_read_u16 v55, v41 offset:128
	ds_read_u16 v56, v41 offset:256
	;; [unrolled: 1-line block ×3, first 2 shown]
	s_add_i32 s41, s39, -8
	s_mov_b64 s[36:37], 0
	s_waitcnt lgkmcnt(2)
	v_perm_b32 v8, v55, v8, s33
	s_waitcnt lgkmcnt(0)
	v_perm_b32 v55, v57, v56, s33
	s_barrier
	s_branch .LBB41_2
.LBB41_19:
	s_mov_b64 s[10:11], -1
                                        ; implicit-def: $vgpr6
	s_branch .LBB41_21
.LBB41_20:
	v_add_u32_e32 v7, v53, v54
	s_barrier
	ds_write_b32 v53, v46
	ds_write_b32 v52, v45
	;; [unrolled: 1-line block ×4, first 2 shown]
	s_waitcnt lgkmcnt(0)
	s_barrier
	ds_read2_b64 v[3:6], v14 offset1:1
	s_waitcnt lgkmcnt(0)
	s_barrier
	ds_write_b16 v7, v40
	v_lshlrev_b32_e32 v7, 1, v49
	v_sub_u32_e32 v7, v52, v7
	ds_write_b16_d16_hi v7, v40
	v_lshlrev_b32_e32 v7, 1, v48
	v_sub_u32_e32 v7, v51, v7
	ds_write_b16 v7, v37
	v_lshlrev_b32_e32 v7, 1, v47
	v_sub_u32_e32 v7, v50, v7
	ds_write_b16_d16_hi v7, v37
	s_waitcnt lgkmcnt(0)
	s_barrier
	s_mov_b64 s[10:11], 0
.LBB41_21:
	v_add_co_u32_e32 v7, vcc, s38, v9
	v_addc_co_u32_e32 v8, vcc, 0, v33, vcc
	v_add_co_u32_e32 v9, vcc, s40, v10
	v_addc_co_u32_e32 v10, vcc, 0, v32, vcc
	s_and_b64 vcc, exec, s[10:11]
	s_cbranch_vccz .LBB41_41
; %bb.22:
	ds_bpermute_b32 v3, v28, v31
	ds_bpermute_b32 v4, v28, v30
	;; [unrolled: 1-line block ×5, first 2 shown]
	s_waitcnt lgkmcnt(4)
	v_cndmask_b32_e64 v3, 0, v3, s[8:9]
	s_waitcnt lgkmcnt(3)
	v_cndmask_b32_e64 v3, v3, v4, s[6:7]
	ds_bpermute_b32 v4, v27, v29
	s_waitcnt lgkmcnt(3)
	v_cndmask_b32_e64 v3, v3, v5, s[2:3]
	s_waitcnt lgkmcnt(2)
	v_cndmask_b32_e64 v5, 0, v6, s[8:9]
	ds_bpermute_b32 v6, v28, v11
	ds_bpermute_b32 v33, v27, v11
	v_xor_b32_e32 v34, 0x80, v28
	s_waitcnt lgkmcnt(3)
	v_cndmask_b32_e64 v5, v5, v32, s[6:7]
	ds_bpermute_b32 v35, v34, v31
	s_waitcnt lgkmcnt(3)
	v_cndmask_b32_e64 v4, v5, v4, s[2:3]
	s_waitcnt lgkmcnt(2)
	v_cndmask_b32_e64 v5, v3, v6, s[0:1]
	;; [unrolled: 2-line block ×3, first 2 shown]
	ds_bpermute_b32 v4, v34, v30
	v_and_or_b32 v12, v12, 63, v19
	v_lshlrev_b32_e32 v33, 2, v12
	s_waitcnt lgkmcnt(1)
	v_cndmask_b32_e64 v3, 0, v35, s[8:9]
	ds_bpermute_b32 v12, v33, v31
	s_waitcnt lgkmcnt(1)
	v_cndmask_b32_e64 v3, v3, v4, s[6:7]
	ds_bpermute_b32 v4, v33, v30
	ds_bpermute_b32 v32, v34, v29
	;; [unrolled: 1-line block ×3, first 2 shown]
	s_waitcnt lgkmcnt(3)
	v_cndmask_b32_e64 v12, 0, v12, s[8:9]
	ds_bpermute_b32 v30, v34, v11
	s_waitcnt lgkmcnt(3)
	v_cndmask_b32_e64 v4, v12, v4, s[6:7]
	ds_bpermute_b32 v31, v33, v11
	;; [unrolled: 3-line block ×3, first 2 shown]
	v_cndmask_b32_e64 v3, v3, v32, s[2:3]
	s_waitcnt lgkmcnt(2)
	v_cndmask_b32_e64 v11, v3, v30, s[0:1]
	ds_bpermute_b32 v3, v28, v25
	s_waitcnt lgkmcnt(2)
	v_cndmask_b32_e64 v12, v4, v31, s[0:1]
	s_waitcnt lgkmcnt(1)
	v_and_b32_e32 v4, 0xffff, v29
	ds_bpermute_b32 v29, v28, v24
	ds_bpermute_b32 v28, v28, v23
	v_cndmask_b32_e64 v4, 0, v4, s[8:9]
	s_waitcnt lgkmcnt(2)
	v_and_b32_e32 v3, 0xffff, v3
	v_cndmask_b32_e64 v3, v4, v3, s[6:7]
	s_waitcnt lgkmcnt(1)
	v_and_b32_e32 v4, 0xffff, v29
	v_cndmask_b32_e64 v3, v3, v4, s[2:3]
	ds_bpermute_b32 v4, v27, v26
	s_waitcnt lgkmcnt(1)
	v_and_b32_e32 v28, 0xffff, v28
	v_cndmask_b32_e64 v3, v3, v28, s[0:1]
	ds_bpermute_b32 v28, v27, v25
	s_mov_b32 s30, 0x5040100
	ds_bpermute_b32 v29, v27, v24
	s_waitcnt lgkmcnt(2)
	v_perm_b32 v4, v4, v3, s30
	v_cndmask_b32_e64 v3, v3, v4, s[8:9]
	ds_bpermute_b32 v27, v27, v23
	s_waitcnt lgkmcnt(2)
	v_perm_b32 v4, v28, v3, s30
	v_cndmask_b32_e64 v3, v3, v4, s[6:7]
	s_waitcnt lgkmcnt(1)
	v_perm_b32 v4, v29, v3, s30
	ds_bpermute_b32 v28, v34, v26
	v_cndmask_b32_e64 v3, v3, v4, s[2:3]
	s_waitcnt lgkmcnt(1)
	v_perm_b32 v4, v27, v3, s30
	v_cndmask_b32_e64 v3, v3, v4, s[0:1]
	ds_bpermute_b32 v4, v34, v25
	s_waitcnt lgkmcnt(1)
	v_and_b32_e32 v27, 0xffff, v28
	v_cndmask_b32_e64 v27, 0, v27, s[8:9]
	ds_bpermute_b32 v28, v34, v24
	s_mov_b32 s10, 0xffff
	s_waitcnt lgkmcnt(1)
	v_bfi_b32 v4, s10, v4, v27
	v_cndmask_b32_e64 v4, v27, v4, s[6:7]
	ds_bpermute_b32 v27, v34, v23
	ds_bpermute_b32 v26, v33, v26
	s_waitcnt lgkmcnt(2)
	v_bfi_b32 v28, s10, v28, v4
	v_cndmask_b32_e64 v4, v4, v28, s[2:3]
	ds_bpermute_b32 v25, v33, v25
	s_waitcnt lgkmcnt(2)
	v_bfi_b32 v27, s10, v27, v4
	v_cndmask_b32_e64 v4, v4, v27, s[0:1]
	ds_bpermute_b32 v24, v33, v24
	s_waitcnt lgkmcnt(2)
	v_perm_b32 v26, v26, v4, s30
	v_cndmask_b32_e64 v4, v4, v26, s[8:9]
	ds_bpermute_b32 v23, v33, v23
	s_waitcnt lgkmcnt(2)
	v_perm_b32 v25, v25, v4, s30
	s_waitcnt lgkmcnt(0)
	s_barrier
	s_load_dword s4, s[4:5], 0x24
	v_cndmask_b32_e64 v4, v4, v25, s[6:7]
	v_perm_b32 v24, v24, v4, s30
	v_cndmask_b32_e64 v4, v4, v24, s[2:3]
	v_perm_b32 v23, v23, v4, s30
	v_cndmask_b32_e64 v31, v4, v23, s[0:1]
	s_waitcnt lgkmcnt(0)
	s_lshr_b32 s0, s4, 16
	s_and_b32 s1, s4, 0xffff
	v_mad_u32_u24 v1, v2, s0, v1
	s_movk_i32 s24, 0x100
	v_mad_u32_u24 v1, v1, s1, v0
	v_cmp_eq_u32_e64 s[12:13], v0, v18
	v_cmp_gt_u32_e64 s[14:15], 2, v0
	v_cmp_lt_u32_e64 s[16:17], 63, v0
	v_subrev_co_u32_e64 v2, s[18:19], 1, v16
	v_cmp_eq_u32_e64 s[20:21], 0, v0
	v_and_or_b32 v0, v13, s24, v16
	v_cmp_lt_i32_e32 vcc, v2, v19
	v_cmp_eq_u32_e64 s[22:23], 0, v20
	v_lshlrev_b32_e32 v20, 2, v0
	v_lshlrev_b32_e32 v0, 1, v0
	s_mov_b32 s26, 0
	v_cndmask_b32_e32 v2, v2, v16, vcc
	v_and_b32_e32 v17, 4, v17
	v_sub_u32_e32 v0, 0, v0
	v_lshrrev_b32_e32 v1, 4, v1
	v_cmp_eq_u32_e64 s[0:1], 0, v21
	v_cmp_lt_u32_e64 s[2:3], 1, v21
	v_cmp_lt_u32_e64 s[4:5], 3, v21
	;; [unrolled: 1-line block ×3, first 2 shown]
	v_cmp_eq_u32_e64 s[8:9], 0, v22
	v_cmp_lt_u32_e64 s[10:11], 31, v16
	v_lshlrev_b32_e32 v18, 2, v2
	v_add_u32_e32 v19, -4, v17
	v_and_b32_e32 v21, 0xffffffc, v1
	v_mov_b32_e32 v4, 0
	s_mov_b32 s27, s26
	s_mov_b32 s28, s26
	;; [unrolled: 1-line block ×3, first 2 shown]
	v_add_u32_e32 v22, v14, v15
	v_add_u32_e32 v24, v20, v0
	v_mov_b32_e32 v25, 3
	v_mov_b32_e32 v26, 0
	s_branch .LBB41_24
.LBB41_23:                              ;   in Loop: Header=BB41_24 Depth=1
	s_andn2_b64 vcc, exec, s[24:25]
	s_cbranch_vccz .LBB41_40
.LBB41_24:                              ; =>This Inner Loop Header: Depth=1
	v_mov_b32_e32 v16, v3
	v_mov_b32_e32 v0, s26
	;; [unrolled: 1-line block ×6, first 2 shown]
	ds_write2_b64 v14, v[0:1], v[2:3] offset0:1 offset1:2
	v_lshrrev_b32_e32 v0, v26, v29
	v_and_b32_e32 v1, 1, v0
	v_add_co_u32_e32 v3, vcc, -1, v1
	v_addc_co_u32_e64 v5, s[24:25], 0, -1, vcc
	v_cmp_ne_u32_e32 vcc, 0, v1
	v_xor_b32_e32 v1, vcc_hi, v5
	v_lshlrev_b32_e32 v5, 30, v0
	v_xor_b32_e32 v3, vcc_lo, v3
	v_cmp_gt_i64_e32 vcc, 0, v[4:5]
	v_not_b32_e32 v5, v5
	v_ashrrev_i32_e32 v5, 31, v5
	v_mov_b32_e32 v28, v6
	v_and_b32_e32 v3, exec_lo, v3
	v_xor_b32_e32 v6, vcc_hi, v5
	v_xor_b32_e32 v5, vcc_lo, v5
	v_and_b32_e32 v3, v3, v5
	v_lshlrev_b32_e32 v5, 29, v0
	v_cmp_gt_i64_e32 vcc, 0, v[4:5]
	v_not_b32_e32 v5, v5
	v_and_b32_e32 v1, exec_hi, v1
	v_ashrrev_i32_e32 v5, 31, v5
	v_and_b32_e32 v1, v1, v6
	v_xor_b32_e32 v6, vcc_hi, v5
	v_xor_b32_e32 v5, vcc_lo, v5
	v_and_b32_e32 v3, v3, v5
	v_lshlrev_b32_e32 v5, 28, v0
	v_cmp_gt_i64_e32 vcc, 0, v[4:5]
	v_not_b32_e32 v5, v5
	v_ashrrev_i32_e32 v5, 31, v5
	v_and_b32_e32 v1, v1, v6
	v_xor_b32_e32 v6, vcc_hi, v5
	v_xor_b32_e32 v5, vcc_lo, v5
	v_and_b32_e32 v3, v3, v5
	v_lshlrev_b32_e32 v5, 27, v0
	v_cmp_gt_i64_e32 vcc, 0, v[4:5]
	v_not_b32_e32 v5, v5
	;; [unrolled: 8-line block ×4, first 2 shown]
	v_ashrrev_i32_e32 v5, 31, v5
	v_and_b32_e32 v1, v1, v6
	v_xor_b32_e32 v6, vcc_hi, v5
	v_xor_b32_e32 v5, vcc_lo, v5
	v_and_b32_e32 v3, v3, v5
	v_lshlrev_b32_e32 v5, 24, v0
	v_lshlrev_b32_sdwa v2, v25, v0 dst_sel:DWORD dst_unused:UNUSED_PAD src0_sel:DWORD src1_sel:BYTE_0
	v_cmp_gt_i64_e32 vcc, 0, v[4:5]
	v_not_b32_e32 v0, v5
	v_ashrrev_i32_e32 v0, 31, v0
	v_xor_b32_e32 v5, vcc_hi, v0
	v_xor_b32_e32 v0, vcc_lo, v0
	v_and_b32_e32 v1, v1, v6
	v_and_b32_e32 v0, v3, v0
	;; [unrolled: 1-line block ×3, first 2 shown]
	v_mbcnt_lo_u32_b32 v3, v0, 0
	v_mbcnt_hi_u32_b32 v6, v1, v3
	v_cmp_ne_u64_e32 vcc, 0, v[0:1]
	v_cmp_eq_u32_e64 s[24:25], 0, v6
	v_mov_b32_e32 v23, v12
	v_mov_b32_e32 v27, v11
	;; [unrolled: 1-line block ×3, first 2 shown]
	s_and_b64 s[34:35], vcc, s[24:25]
	v_add_u32_e32 v11, v21, v2
	s_waitcnt lgkmcnt(0)
	s_barrier
	; wave barrier
	s_and_saveexec_b64 s[24:25], s[34:35]
; %bb.25:                               ;   in Loop: Header=BB41_24 Depth=1
	v_bcnt_u32_b32 v0, v0, 0
	v_bcnt_u32_b32 v0, v1, v0
	ds_write_b32 v11, v0 offset:8
; %bb.26:                               ;   in Loop: Header=BB41_24 Depth=1
	s_or_b64 exec, exec, s[24:25]
	v_lshrrev_b32_e32 v0, v26, v28
	v_lshlrev_b32_sdwa v1, v25, v0 dst_sel:DWORD dst_unused:UNUSED_PAD src0_sel:DWORD src1_sel:BYTE_0
	v_add_u32_e32 v30, v21, v1
	v_and_b32_e32 v1, 1, v0
	v_add_co_u32_e32 v2, vcc, -1, v1
	v_addc_co_u32_e64 v3, s[24:25], 0, -1, vcc
	v_cmp_ne_u32_e32 vcc, 0, v1
	v_lshlrev_b32_e32 v5, 30, v0
	v_xor_b32_e32 v1, vcc_hi, v3
	v_xor_b32_e32 v2, vcc_lo, v2
	v_cmp_gt_i64_e32 vcc, 0, v[4:5]
	v_not_b32_e32 v3, v5
	v_ashrrev_i32_e32 v3, 31, v3
	v_and_b32_e32 v1, exec_hi, v1
	v_xor_b32_e32 v5, vcc_hi, v3
	v_and_b32_e32 v2, exec_lo, v2
	v_xor_b32_e32 v3, vcc_lo, v3
	v_and_b32_e32 v1, v1, v5
	v_lshlrev_b32_e32 v5, 29, v0
	v_and_b32_e32 v2, v2, v3
	v_cmp_gt_i64_e32 vcc, 0, v[4:5]
	v_not_b32_e32 v3, v5
	v_ashrrev_i32_e32 v3, 31, v3
	v_xor_b32_e32 v5, vcc_hi, v3
	v_xor_b32_e32 v3, vcc_lo, v3
	v_and_b32_e32 v1, v1, v5
	v_lshlrev_b32_e32 v5, 28, v0
	v_and_b32_e32 v2, v2, v3
	v_cmp_gt_i64_e32 vcc, 0, v[4:5]
	v_not_b32_e32 v3, v5
	v_ashrrev_i32_e32 v3, 31, v3
	v_xor_b32_e32 v5, vcc_hi, v3
	;; [unrolled: 8-line block ×5, first 2 shown]
	v_and_b32_e32 v1, v1, v5
	v_lshlrev_b32_e32 v5, 24, v0
	v_xor_b32_e32 v3, vcc_lo, v3
	v_cmp_gt_i64_e32 vcc, 0, v[4:5]
	v_not_b32_e32 v0, v5
	v_ashrrev_i32_e32 v0, 31, v0
	v_and_b32_e32 v2, v2, v3
	v_xor_b32_e32 v3, vcc_hi, v0
	v_xor_b32_e32 v0, vcc_lo, v0
	; wave barrier
	ds_read_b32 v12, v30 offset:8
	v_and_b32_e32 v0, v2, v0
	v_and_b32_e32 v1, v1, v3
	v_mbcnt_lo_u32_b32 v2, v0, 0
	v_mbcnt_hi_u32_b32 v31, v1, v2
	v_cmp_ne_u64_e32 vcc, 0, v[0:1]
	v_cmp_eq_u32_e64 s[24:25], 0, v31
	s_and_b64 s[34:35], vcc, s[24:25]
	; wave barrier
	s_and_saveexec_b64 s[24:25], s[34:35]
	s_cbranch_execz .LBB41_28
; %bb.27:                               ;   in Loop: Header=BB41_24 Depth=1
	v_bcnt_u32_b32 v0, v0, 0
	v_bcnt_u32_b32 v0, v1, v0
	s_waitcnt lgkmcnt(0)
	v_add_u32_e32 v0, v12, v0
	ds_write_b32 v30, v0 offset:8
.LBB41_28:                              ;   in Loop: Header=BB41_24 Depth=1
	s_or_b64 exec, exec, s[24:25]
	v_lshrrev_b32_e32 v0, v26, v27
	v_lshlrev_b32_sdwa v1, v25, v0 dst_sel:DWORD dst_unused:UNUSED_PAD src0_sel:DWORD src1_sel:BYTE_0
	v_add_u32_e32 v33, v21, v1
	v_and_b32_e32 v1, 1, v0
	v_add_co_u32_e32 v2, vcc, -1, v1
	v_addc_co_u32_e64 v3, s[24:25], 0, -1, vcc
	v_cmp_ne_u32_e32 vcc, 0, v1
	v_lshlrev_b32_e32 v5, 30, v0
	v_xor_b32_e32 v1, vcc_hi, v3
	v_xor_b32_e32 v2, vcc_lo, v2
	v_cmp_gt_i64_e32 vcc, 0, v[4:5]
	v_not_b32_e32 v3, v5
	v_ashrrev_i32_e32 v3, 31, v3
	v_and_b32_e32 v1, exec_hi, v1
	v_xor_b32_e32 v5, vcc_hi, v3
	v_and_b32_e32 v2, exec_lo, v2
	v_xor_b32_e32 v3, vcc_lo, v3
	v_and_b32_e32 v1, v1, v5
	v_lshlrev_b32_e32 v5, 29, v0
	v_and_b32_e32 v2, v2, v3
	v_cmp_gt_i64_e32 vcc, 0, v[4:5]
	v_not_b32_e32 v3, v5
	v_ashrrev_i32_e32 v3, 31, v3
	v_xor_b32_e32 v5, vcc_hi, v3
	v_xor_b32_e32 v3, vcc_lo, v3
	v_and_b32_e32 v1, v1, v5
	v_lshlrev_b32_e32 v5, 28, v0
	v_and_b32_e32 v2, v2, v3
	v_cmp_gt_i64_e32 vcc, 0, v[4:5]
	v_not_b32_e32 v3, v5
	v_ashrrev_i32_e32 v3, 31, v3
	v_xor_b32_e32 v5, vcc_hi, v3
	;; [unrolled: 8-line block ×5, first 2 shown]
	v_and_b32_e32 v1, v1, v5
	v_lshlrev_b32_e32 v5, 24, v0
	v_xor_b32_e32 v3, vcc_lo, v3
	v_cmp_gt_i64_e32 vcc, 0, v[4:5]
	v_not_b32_e32 v0, v5
	v_ashrrev_i32_e32 v0, 31, v0
	v_and_b32_e32 v2, v2, v3
	v_xor_b32_e32 v3, vcc_hi, v0
	v_xor_b32_e32 v0, vcc_lo, v0
	; wave barrier
	ds_read_b32 v32, v33 offset:8
	v_and_b32_e32 v0, v2, v0
	v_and_b32_e32 v1, v1, v3
	v_mbcnt_lo_u32_b32 v2, v0, 0
	v_mbcnt_hi_u32_b32 v34, v1, v2
	v_cmp_ne_u64_e32 vcc, 0, v[0:1]
	v_cmp_eq_u32_e64 s[24:25], 0, v34
	s_and_b64 s[34:35], vcc, s[24:25]
	; wave barrier
	s_and_saveexec_b64 s[24:25], s[34:35]
	s_cbranch_execz .LBB41_30
; %bb.29:                               ;   in Loop: Header=BB41_24 Depth=1
	v_bcnt_u32_b32 v0, v0, 0
	v_bcnt_u32_b32 v0, v1, v0
	s_waitcnt lgkmcnt(0)
	v_add_u32_e32 v0, v32, v0
	ds_write_b32 v33, v0 offset:8
.LBB41_30:                              ;   in Loop: Header=BB41_24 Depth=1
	s_or_b64 exec, exec, s[24:25]
	v_lshrrev_b32_e32 v0, v26, v23
	v_lshlrev_b32_sdwa v1, v25, v0 dst_sel:DWORD dst_unused:UNUSED_PAD src0_sel:DWORD src1_sel:BYTE_0
	v_add_u32_e32 v36, v21, v1
	v_and_b32_e32 v1, 1, v0
	v_add_co_u32_e32 v2, vcc, -1, v1
	v_addc_co_u32_e64 v3, s[24:25], 0, -1, vcc
	v_cmp_ne_u32_e32 vcc, 0, v1
	v_lshlrev_b32_e32 v5, 30, v0
	v_xor_b32_e32 v1, vcc_hi, v3
	v_xor_b32_e32 v2, vcc_lo, v2
	v_cmp_gt_i64_e32 vcc, 0, v[4:5]
	v_not_b32_e32 v3, v5
	v_ashrrev_i32_e32 v3, 31, v3
	v_and_b32_e32 v1, exec_hi, v1
	v_xor_b32_e32 v5, vcc_hi, v3
	v_and_b32_e32 v2, exec_lo, v2
	v_xor_b32_e32 v3, vcc_lo, v3
	v_and_b32_e32 v1, v1, v5
	v_lshlrev_b32_e32 v5, 29, v0
	v_and_b32_e32 v2, v2, v3
	v_cmp_gt_i64_e32 vcc, 0, v[4:5]
	v_not_b32_e32 v3, v5
	v_ashrrev_i32_e32 v3, 31, v3
	v_xor_b32_e32 v5, vcc_hi, v3
	v_xor_b32_e32 v3, vcc_lo, v3
	v_and_b32_e32 v1, v1, v5
	v_lshlrev_b32_e32 v5, 28, v0
	v_and_b32_e32 v2, v2, v3
	v_cmp_gt_i64_e32 vcc, 0, v[4:5]
	v_not_b32_e32 v3, v5
	v_ashrrev_i32_e32 v3, 31, v3
	v_xor_b32_e32 v5, vcc_hi, v3
	;; [unrolled: 8-line block ×5, first 2 shown]
	v_and_b32_e32 v1, v1, v5
	v_lshlrev_b32_e32 v5, 24, v0
	v_xor_b32_e32 v3, vcc_lo, v3
	v_cmp_gt_i64_e32 vcc, 0, v[4:5]
	v_not_b32_e32 v0, v5
	v_ashrrev_i32_e32 v0, 31, v0
	v_and_b32_e32 v2, v2, v3
	v_xor_b32_e32 v3, vcc_hi, v0
	v_xor_b32_e32 v0, vcc_lo, v0
	; wave barrier
	ds_read_b32 v35, v36 offset:8
	v_and_b32_e32 v0, v2, v0
	v_and_b32_e32 v1, v1, v3
	v_mbcnt_lo_u32_b32 v2, v0, 0
	v_mbcnt_hi_u32_b32 v5, v1, v2
	v_cmp_ne_u64_e32 vcc, 0, v[0:1]
	v_cmp_eq_u32_e64 s[24:25], 0, v5
	s_and_b64 s[34:35], vcc, s[24:25]
	; wave barrier
	s_and_saveexec_b64 s[24:25], s[34:35]
	s_cbranch_execz .LBB41_32
; %bb.31:                               ;   in Loop: Header=BB41_24 Depth=1
	v_bcnt_u32_b32 v0, v0, 0
	v_bcnt_u32_b32 v0, v1, v0
	s_waitcnt lgkmcnt(0)
	v_add_u32_e32 v0, v35, v0
	ds_write_b32 v36, v0 offset:8
.LBB41_32:                              ;   in Loop: Header=BB41_24 Depth=1
	s_or_b64 exec, exec, s[24:25]
	; wave barrier
	s_waitcnt lgkmcnt(0)
	s_barrier
	ds_read2_b64 v[0:3], v14 offset0:1 offset1:2
	s_waitcnt lgkmcnt(0)
	v_add_u32_e32 v37, v1, v0
	v_add3_u32 v3, v37, v2, v3
	s_nop 1
	v_mov_b32_dpp v37, v3 row_shr:1 row_mask:0xf bank_mask:0xf
	v_cndmask_b32_e64 v37, v37, 0, s[0:1]
	v_add_u32_e32 v3, v37, v3
	s_nop 1
	v_mov_b32_dpp v37, v3 row_shr:2 row_mask:0xf bank_mask:0xf
	v_cndmask_b32_e64 v37, 0, v37, s[2:3]
	v_add_u32_e32 v3, v3, v37
	;; [unrolled: 4-line block ×4, first 2 shown]
	s_nop 1
	v_mov_b32_dpp v37, v3 row_bcast:15 row_mask:0xf bank_mask:0xf
	v_cndmask_b32_e64 v37, v37, 0, s[8:9]
	v_add_u32_e32 v3, v3, v37
	s_nop 1
	v_mov_b32_dpp v37, v3 row_bcast:31 row_mask:0xf bank_mask:0xf
	v_cndmask_b32_e64 v37, 0, v37, s[10:11]
	v_add_u32_e32 v3, v3, v37
	s_and_saveexec_b64 s[24:25], s[12:13]
; %bb.33:                               ;   in Loop: Header=BB41_24 Depth=1
	ds_write_b32 v17, v3
; %bb.34:                               ;   in Loop: Header=BB41_24 Depth=1
	s_or_b64 exec, exec, s[24:25]
	s_waitcnt lgkmcnt(0)
	s_barrier
	s_and_saveexec_b64 s[24:25], s[14:15]
	s_cbranch_execz .LBB41_36
; %bb.35:                               ;   in Loop: Header=BB41_24 Depth=1
	ds_read_b32 v37, v22
	s_waitcnt lgkmcnt(0)
	s_nop 0
	v_mov_b32_dpp v38, v37 row_shr:1 row_mask:0xf bank_mask:0xf
	v_cndmask_b32_e64 v38, v38, 0, s[22:23]
	v_add_u32_e32 v37, v38, v37
	ds_write_b32 v22, v37
.LBB41_36:                              ;   in Loop: Header=BB41_24 Depth=1
	s_or_b64 exec, exec, s[24:25]
	v_mov_b32_e32 v37, 0
	s_waitcnt lgkmcnt(0)
	s_barrier
	s_and_saveexec_b64 s[24:25], s[16:17]
; %bb.37:                               ;   in Loop: Header=BB41_24 Depth=1
	ds_read_b32 v37, v19
; %bb.38:                               ;   in Loop: Header=BB41_24 Depth=1
	s_or_b64 exec, exec, s[24:25]
	s_waitcnt lgkmcnt(0)
	v_add_u32_e32 v3, v37, v3
	ds_bpermute_b32 v3, v18, v3
	v_cmp_lt_u32_e32 vcc, 23, v26
	s_and_b64 vcc, exec, vcc
	s_mov_b64 s[24:25], -1
	s_waitcnt lgkmcnt(0)
	v_cndmask_b32_e64 v3, v3, v37, s[18:19]
	v_cndmask_b32_e64 v37, v3, 0, s[20:21]
	v_add_u32_e32 v38, v37, v0
	v_add_u32_e32 v0, v38, v1
	;; [unrolled: 1-line block ×3, first 2 shown]
	ds_write2_b64 v14, v[37:38], v[0:1] offset0:1 offset1:2
	s_waitcnt lgkmcnt(0)
	s_barrier
	ds_read_b32 v0, v11 offset:8
	ds_read_b32 v1, v30 offset:8
	;; [unrolled: 1-line block ×4, first 2 shown]
	s_waitcnt lgkmcnt(3)
	v_add_u32_e32 v30, v0, v6
	s_waitcnt lgkmcnt(2)
	v_add3_u32 v2, v31, v12, v1
	s_waitcnt lgkmcnt(1)
	v_add3_u32 v1, v34, v32, v3
	;; [unrolled: 2-line block ×3, first 2 shown]
                                        ; implicit-def: $vgpr12
                                        ; implicit-def: $vgpr6
                                        ; implicit-def: $vgpr31
                                        ; implicit-def: $vgpr3
	s_cbranch_vccnz .LBB41_23
; %bb.39:                               ;   in Loop: Header=BB41_24 Depth=1
	v_lshlrev_b32_e32 v3, 2, v30
	v_lshlrev_b32_e32 v34, 1, v30
	s_barrier
	ds_write_b32 v3, v29
	v_lshlrev_b32_e32 v31, 2, v2
	v_lshlrev_b32_e32 v32, 2, v1
	;; [unrolled: 1-line block ×3, first 2 shown]
	v_sub_u32_e32 v3, v3, v34
	ds_write_b32 v31, v28
	ds_write_b32 v32, v27
	;; [unrolled: 1-line block ×3, first 2 shown]
	s_waitcnt lgkmcnt(0)
	s_barrier
	ds_read2st64_b32 v[5:6], v20 offset1:1
	ds_read2st64_b32 v[11:12], v20 offset0:2 offset1:3
	s_waitcnt lgkmcnt(0)
	s_barrier
	ds_write_b16 v3, v16
	v_lshlrev_b32_e32 v3, 1, v2
	v_sub_u32_e32 v3, v31, v3
	ds_write_b16_d16_hi v3, v16
	v_lshlrev_b32_e32 v3, 1, v1
	v_sub_u32_e32 v3, v32, v3
	ds_write_b16 v3, v15
	v_lshlrev_b32_e32 v3, 1, v0
	v_sub_u32_e32 v3, v33, v3
	ds_write_b16_d16_hi v3, v15
	s_waitcnt lgkmcnt(0)
	s_barrier
	ds_read_u16 v3, v24
	ds_read_u16 v31, v24 offset:128
	ds_read_u16 v32, v24 offset:256
	ds_read_u16 v33, v24 offset:384
	v_add_u32_e32 v26, 8, v26
	s_mov_b64 s[24:25], 0
	s_waitcnt lgkmcnt(2)
	v_perm_b32 v3, v31, v3, s30
	s_waitcnt lgkmcnt(0)
	v_perm_b32 v31, v33, v32, s30
	s_barrier
	s_branch .LBB41_23
.LBB41_40:
	v_lshlrev_b32_e32 v11, 2, v30
	v_lshlrev_b32_e32 v12, 2, v2
	;; [unrolled: 1-line block ×4, first 2 shown]
	s_barrier
	ds_write_b32 v11, v29
	ds_write_b32 v12, v28
	;; [unrolled: 1-line block ×4, first 2 shown]
	s_waitcnt lgkmcnt(0)
	s_barrier
	ds_read2_b64 v[3:6], v14 offset1:1
	v_lshlrev_b32_e32 v14, 1, v30
	v_lshlrev_b32_e32 v2, 1, v2
	;; [unrolled: 1-line block ×4, first 2 shown]
	v_sub_u32_e32 v11, v11, v14
	v_sub_u32_e32 v2, v12, v2
	;; [unrolled: 1-line block ×4, first 2 shown]
	s_waitcnt lgkmcnt(0)
	s_barrier
	ds_write_b16 v11, v16
	ds_write_b16_d16_hi v2, v16
	ds_write_b16 v1, v15
	ds_write_b16_d16_hi v0, v15
	s_waitcnt lgkmcnt(0)
	s_barrier
.LBB41_41:
	v_lshlrev_b32_e32 v1, 1, v13
	ds_read_b64 v[11:12], v1
	v_xor_b32_e32 v0, 0x80000000, v3
	v_xor_b32_e32 v1, 0x80000000, v4
	;; [unrolled: 1-line block ×4, first 2 shown]
	global_store_dwordx4 v[7:8], v[0:3], off
	s_waitcnt lgkmcnt(0)
	global_store_dwordx2 v[9:10], v[11:12], off
	s_endpgm
	.section	.rodata,"a",@progbits
	.p2align	6, 0x0
	.amdhsa_kernel _Z21sort_key_value_kernelILj128ELj4ELb0ELb0EisEvPT3_PT4_jj
		.amdhsa_group_segment_fixed_size 2064
		.amdhsa_private_segment_fixed_size 0
		.amdhsa_kernarg_size 280
		.amdhsa_user_sgpr_count 6
		.amdhsa_user_sgpr_private_segment_buffer 1
		.amdhsa_user_sgpr_dispatch_ptr 0
		.amdhsa_user_sgpr_queue_ptr 0
		.amdhsa_user_sgpr_kernarg_segment_ptr 1
		.amdhsa_user_sgpr_dispatch_id 0
		.amdhsa_user_sgpr_flat_scratch_init 0
		.amdhsa_user_sgpr_private_segment_size 0
		.amdhsa_uses_dynamic_stack 0
		.amdhsa_system_sgpr_private_segment_wavefront_offset 0
		.amdhsa_system_sgpr_workgroup_id_x 1
		.amdhsa_system_sgpr_workgroup_id_y 0
		.amdhsa_system_sgpr_workgroup_id_z 0
		.amdhsa_system_sgpr_workgroup_info 0
		.amdhsa_system_vgpr_workitem_id 2
		.amdhsa_next_free_vgpr 59
		.amdhsa_next_free_sgpr 61
		.amdhsa_reserve_vcc 1
		.amdhsa_reserve_flat_scratch 0
		.amdhsa_float_round_mode_32 0
		.amdhsa_float_round_mode_16_64 0
		.amdhsa_float_denorm_mode_32 3
		.amdhsa_float_denorm_mode_16_64 3
		.amdhsa_dx10_clamp 1
		.amdhsa_ieee_mode 1
		.amdhsa_fp16_overflow 0
		.amdhsa_exception_fp_ieee_invalid_op 0
		.amdhsa_exception_fp_denorm_src 0
		.amdhsa_exception_fp_ieee_div_zero 0
		.amdhsa_exception_fp_ieee_overflow 0
		.amdhsa_exception_fp_ieee_underflow 0
		.amdhsa_exception_fp_ieee_inexact 0
		.amdhsa_exception_int_div_zero 0
	.end_amdhsa_kernel
	.section	.text._Z21sort_key_value_kernelILj128ELj4ELb0ELb0EisEvPT3_PT4_jj,"axG",@progbits,_Z21sort_key_value_kernelILj128ELj4ELb0ELb0EisEvPT3_PT4_jj,comdat
.Lfunc_end41:
	.size	_Z21sort_key_value_kernelILj128ELj4ELb0ELb0EisEvPT3_PT4_jj, .Lfunc_end41-_Z21sort_key_value_kernelILj128ELj4ELb0ELb0EisEvPT3_PT4_jj
                                        ; -- End function
	.set _Z21sort_key_value_kernelILj128ELj4ELb0ELb0EisEvPT3_PT4_jj.num_vgpr, 59
	.set _Z21sort_key_value_kernelILj128ELj4ELb0ELb0EisEvPT3_PT4_jj.num_agpr, 0
	.set _Z21sort_key_value_kernelILj128ELj4ELb0ELb0EisEvPT3_PT4_jj.numbered_sgpr, 50
	.set _Z21sort_key_value_kernelILj128ELj4ELb0ELb0EisEvPT3_PT4_jj.num_named_barrier, 0
	.set _Z21sort_key_value_kernelILj128ELj4ELb0ELb0EisEvPT3_PT4_jj.private_seg_size, 0
	.set _Z21sort_key_value_kernelILj128ELj4ELb0ELb0EisEvPT3_PT4_jj.uses_vcc, 1
	.set _Z21sort_key_value_kernelILj128ELj4ELb0ELb0EisEvPT3_PT4_jj.uses_flat_scratch, 0
	.set _Z21sort_key_value_kernelILj128ELj4ELb0ELb0EisEvPT3_PT4_jj.has_dyn_sized_stack, 0
	.set _Z21sort_key_value_kernelILj128ELj4ELb0ELb0EisEvPT3_PT4_jj.has_recursion, 0
	.set _Z21sort_key_value_kernelILj128ELj4ELb0ELb0EisEvPT3_PT4_jj.has_indirect_call, 0
	.section	.AMDGPU.csdata,"",@progbits
; Kernel info:
; codeLenInByte = 7044
; TotalNumSgprs: 54
; NumVgprs: 59
; ScratchSize: 0
; MemoryBound: 0
; FloatMode: 240
; IeeeMode: 1
; LDSByteSize: 2064 bytes/workgroup (compile time only)
; SGPRBlocks: 8
; VGPRBlocks: 14
; NumSGPRsForWavesPerEU: 65
; NumVGPRsForWavesPerEU: 59
; Occupancy: 4
; WaveLimiterHint : 0
; COMPUTE_PGM_RSRC2:SCRATCH_EN: 0
; COMPUTE_PGM_RSRC2:USER_SGPR: 6
; COMPUTE_PGM_RSRC2:TRAP_HANDLER: 0
; COMPUTE_PGM_RSRC2:TGID_X_EN: 1
; COMPUTE_PGM_RSRC2:TGID_Y_EN: 0
; COMPUTE_PGM_RSRC2:TGID_Z_EN: 0
; COMPUTE_PGM_RSRC2:TIDIG_COMP_CNT: 2
	.section	.text._Z21sort_key_value_kernelILj64ELj2ELb0ELb1EfcEvPT3_PT4_jj,"axG",@progbits,_Z21sort_key_value_kernelILj64ELj2ELb0ELb1EfcEvPT3_PT4_jj,comdat
	.protected	_Z21sort_key_value_kernelILj64ELj2ELb0ELb1EfcEvPT3_PT4_jj ; -- Begin function _Z21sort_key_value_kernelILj64ELj2ELb0ELb1EfcEvPT3_PT4_jj
	.globl	_Z21sort_key_value_kernelILj64ELj2ELb0ELb1EfcEvPT3_PT4_jj
	.p2align	8
	.type	_Z21sort_key_value_kernelILj64ELj2ELb0ELb1EfcEvPT3_PT4_jj,@function
_Z21sort_key_value_kernelILj64ELj2ELb0ELb1EfcEvPT3_PT4_jj: ; @_Z21sort_key_value_kernelILj64ELj2ELb0ELb1EfcEvPT3_PT4_jj
; %bb.0:
	s_load_dwordx4 s[0:3], s[4:5], 0x0
	s_load_dwordx2 s[26:27], s[4:5], 0x10
	s_lshl_b32 s6, s6, 7
	s_mov_b32 s7, 0
	s_lshl_b64 s[8:9], s[6:7], 2
	s_waitcnt lgkmcnt(0)
	s_add_u32 s22, s0, s8
	s_addc_u32 s23, s1, s9
	v_lshlrev_b32_e32 v13, 3, v0
	global_load_dwordx2 v[4:5], v13, s[22:23]
	s_add_u32 s24, s2, s6
	v_lshlrev_b32_e32 v9, 1, v0
	s_addc_u32 s25, s3, 0
	global_load_ushort v6, v9, s[24:25]
	s_cmp_lg_u32 s26, 0
	v_mbcnt_lo_u32_b32 v7, -1, 0
	s_cselect_b64 s[8:9], -1, 0
	s_cmp_lg_u32 s27, 32
	v_mbcnt_hi_u32_b32 v10, -1, v7
	s_cselect_b64 s[10:11], -1, 0
	v_lshrrev_b32_e32 v7, 1, v10
	s_or_b64 s[8:9], s[8:9], s[10:11]
	v_bfrev_b32_e32 v8, -2
	v_and_or_b32 v7, v10, 64, v7
	s_and_b64 vcc, exec, s[8:9]
	v_lshlrev_b32_e32 v18, 2, v7
	v_and_b32_e32 v17, 1, v10
	v_mov_b32_e32 v3, 0
	v_lshlrev_b32_e32 v11, 4, v0
	v_cmp_eq_u32_e64 s[2:3], 63, v0
	v_cmp_eq_u32_e64 s[18:19], 0, v0
	v_and_b32_e32 v15, 15, v10
	v_and_b32_e32 v16, 16, v10
	v_cmp_lt_u32_e64 s[6:7], 31, v10
	v_and_b32_e32 v14, 64, v10
	v_lshlrev_b32_e32 v12, 2, v10
	v_cmp_eq_u32_e64 s[0:1], 0, v17
	v_xor_b32_e32 v17, 0x80, v18
	v_mov_b32_e32 v24, s23
	v_mov_b32_e32 v21, s25
	s_waitcnt vmcnt(1)
	v_cmp_gt_i32_e64 s[8:9], 0, v4
	v_cndmask_b32_e64 v7, v8, 0, s[8:9]
	v_cmp_gt_i32_e64 s[8:9], 0, v5
	v_cndmask_b32_e64 v19, v8, 0, s[8:9]
	v_xor_b32_e32 v22, v7, v4
	v_xor_b32_e32 v23, v19, v5
	s_waitcnt vmcnt(0)
	v_and_b32_e32 v20, 0xff, v6
	v_lshrrev_b16_e32 v19, 8, v6
	s_cbranch_vccz .LBB42_11
; %bb.1:
	ds_bpermute_b32 v4, v18, v22
	ds_bpermute_b32 v5, v18, v23
	;; [unrolled: 1-line block ×5, first 2 shown]
	s_mov_b64 vcc, s[0:1]
	s_waitcnt lgkmcnt(3)
	v_cndmask_b32_e64 v4, v5, v4, s[0:1]
	s_waitcnt lgkmcnt(0)
	v_cndmask_b32_e64 v5, v7, v6, s[0:1]
	ds_bpermute_b32 v7, v18, v19
	ds_bpermute_b32 v6, v18, v20
	v_lshlrev_b16_e32 v25, 8, v25
	; wave barrier
	s_waitcnt lgkmcnt(0)
	s_load_dword s8, s[4:5], 0x24
	v_and_b32_e32 v7, 0xff, v7
	v_cndmask_b32_sdwa v6, v7, v6, vcc dst_sel:DWORD dst_unused:UNUSED_PAD src0_sel:DWORD src1_sel:BYTE_0
	v_or_b32_e32 v6, v6, v25
	ds_bpermute_b32 v25, v17, v19
	v_cndmask_b32_e64 v7, v7, v6, s[0:1]
	s_waitcnt lgkmcnt(0)
	s_lshr_b32 s9, s8, 16
	s_and_b32 s8, s8, 0xffff
	v_cmp_lt_u32_e64 s[10:11], 1, v15
	v_lshlrev_b16_e32 v25, 8, v25
	v_or_b32_sdwa v7, v7, v25 dst_sel:DWORD dst_unused:UNUSED_PAD src0_sel:BYTE_0 src1_sel:DWORD
	v_cndmask_b32_e64 v6, v7, v6, s[0:1]
	v_and_b32_e32 v7, 0xffff, v6
	v_mad_u32_u24 v6, v2, s9, v1
	v_subrev_co_u32_e32 v25, vcc, 1, v10
	v_mad_u32_u24 v6, v6, s8, v0
	v_cmp_lt_i32_e64 s[20:21], v25, v14
	v_cndmask_b32_e64 v25, v25, v10, s[20:21]
	v_lshrrev_b32_e32 v6, 4, v6
	v_cmp_eq_u32_e64 s[8:9], 0, v15
	v_cmp_lt_u32_e64 s[12:13], 3, v15
	v_cmp_lt_u32_e64 s[14:15], 7, v15
	v_cmp_eq_u32_e64 s[16:17], 0, v16
	v_lshlrev_b32_e32 v25, 2, v25
	s_or_b64 s[20:21], s[18:19], vcc
	v_and_b32_e32 v27, 0xffffffc, v6
	s_sub_i32 s28, s27, s26
	s_brev_b32 s23, 1
	s_mov_b32 s25, 0xc0c0004
	s_branch .LBB42_3
.LBB42_2:                               ;   in Loop: Header=BB42_3 Depth=1
	s_andn2_b64 vcc, exec, s[18:19]
	s_mov_b32 s28, s29
	s_cbranch_vccz .LBB42_12
.LBB42_3:                               ; =>This Inner Loop Header: Depth=1
	v_mov_b32_e32 v29, v4
	s_min_u32 s18, s28, 8
	v_cmp_ne_u32_e32 vcc, s23, v29
	s_lshl_b32 s18, -1, s18
	v_cndmask_b32_e32 v4, v8, v29, vcc
	s_not_b32 s29, s18
	v_lshrrev_b32_e32 v4, s26, v4
	v_mov_b32_e32 v28, v5
	v_and_b32_e32 v5, s29, v4
	v_and_b32_e32 v4, 1, v5
	v_add_co_u32_e32 v6, vcc, -1, v4
	v_mov_b32_e32 v26, v7
	v_addc_co_u32_e64 v7, s[18:19], 0, -1, vcc
	v_cmp_ne_u32_e32 vcc, 0, v4
	v_xor_b32_e32 v4, vcc_hi, v7
	v_and_b32_e32 v7, exec_hi, v4
	v_lshlrev_b32_e32 v4, 30, v5
	v_xor_b32_e32 v6, vcc_lo, v6
	v_cmp_gt_i64_e32 vcc, 0, v[3:4]
	v_not_b32_e32 v4, v4
	v_ashrrev_i32_e32 v4, 31, v4
	v_and_b32_e32 v6, exec_lo, v6
	v_xor_b32_e32 v31, vcc_hi, v4
	v_xor_b32_e32 v4, vcc_lo, v4
	v_and_b32_e32 v6, v6, v4
	v_lshlrev_b32_e32 v4, 29, v5
	v_cmp_gt_i64_e32 vcc, 0, v[3:4]
	v_not_b32_e32 v4, v4
	v_ashrrev_i32_e32 v4, 31, v4
	v_and_b32_e32 v7, v7, v31
	v_xor_b32_e32 v31, vcc_hi, v4
	v_xor_b32_e32 v4, vcc_lo, v4
	v_and_b32_e32 v6, v6, v4
	v_lshlrev_b32_e32 v4, 28, v5
	v_cmp_gt_i64_e32 vcc, 0, v[3:4]
	v_not_b32_e32 v4, v4
	v_ashrrev_i32_e32 v4, 31, v4
	v_and_b32_e32 v7, v7, v31
	;; [unrolled: 8-line block ×5, first 2 shown]
	v_xor_b32_e32 v31, vcc_hi, v4
	v_xor_b32_e32 v4, vcc_lo, v4
	v_and_b32_e32 v6, v6, v4
	v_lshlrev_b32_e32 v4, 24, v5
	v_cmp_gt_i64_e32 vcc, 0, v[3:4]
	v_not_b32_e32 v4, v4
	v_ashrrev_i32_e32 v4, 31, v4
	v_lshl_add_u32 v30, v5, 2, v27
	v_xor_b32_e32 v5, vcc_hi, v4
	v_xor_b32_e32 v4, vcc_lo, v4
	v_and_b32_e32 v7, v7, v31
	v_and_b32_e32 v4, v6, v4
	;; [unrolled: 1-line block ×3, first 2 shown]
	v_mbcnt_lo_u32_b32 v6, v4, 0
	v_mbcnt_hi_u32_b32 v31, v5, v6
	v_cmp_ne_u64_e32 vcc, 0, v[4:5]
	v_cmp_eq_u32_e64 s[18:19], 0, v31
	s_and_b64 s[30:31], vcc, s[18:19]
	ds_write2_b32 v11, v3, v3 offset0:1 offset1:2
	ds_write2_b32 v11, v3, v3 offset0:3 offset1:4
	s_waitcnt lgkmcnt(0)
	; wave barrier
	; wave barrier
	s_and_saveexec_b64 s[18:19], s[30:31]
; %bb.4:                                ;   in Loop: Header=BB42_3 Depth=1
	v_bcnt_u32_b32 v4, v4, 0
	v_bcnt_u32_b32 v4, v5, v4
	ds_write_b32 v30, v4 offset:4
; %bb.5:                                ;   in Loop: Header=BB42_3 Depth=1
	s_or_b64 exec, exec, s[18:19]
	v_cmp_ne_u32_e32 vcc, s23, v28
	v_cndmask_b32_e32 v4, v8, v28, vcc
	v_lshrrev_b32_e32 v4, s26, v4
	v_and_b32_e32 v5, s29, v4
	v_and_b32_e32 v4, 1, v5
	v_add_co_u32_e32 v6, vcc, -1, v4
	v_addc_co_u32_e64 v7, s[18:19], 0, -1, vcc
	v_cmp_ne_u32_e32 vcc, 0, v4
	v_xor_b32_e32 v4, vcc_hi, v7
	v_and_b32_e32 v7, exec_hi, v4
	v_lshlrev_b32_e32 v4, 30, v5
	v_xor_b32_e32 v6, vcc_lo, v6
	v_cmp_gt_i64_e32 vcc, 0, v[3:4]
	v_not_b32_e32 v4, v4
	v_ashrrev_i32_e32 v4, 31, v4
	v_and_b32_e32 v6, exec_lo, v6
	v_xor_b32_e32 v34, vcc_hi, v4
	v_xor_b32_e32 v4, vcc_lo, v4
	v_and_b32_e32 v6, v6, v4
	v_lshlrev_b32_e32 v4, 29, v5
	v_cmp_gt_i64_e32 vcc, 0, v[3:4]
	v_not_b32_e32 v4, v4
	v_ashrrev_i32_e32 v4, 31, v4
	v_and_b32_e32 v7, v7, v34
	v_xor_b32_e32 v34, vcc_hi, v4
	v_xor_b32_e32 v4, vcc_lo, v4
	v_and_b32_e32 v6, v6, v4
	v_lshlrev_b32_e32 v4, 28, v5
	v_cmp_gt_i64_e32 vcc, 0, v[3:4]
	v_not_b32_e32 v4, v4
	v_ashrrev_i32_e32 v4, 31, v4
	v_and_b32_e32 v7, v7, v34
	;; [unrolled: 8-line block ×5, first 2 shown]
	v_xor_b32_e32 v34, vcc_hi, v4
	v_xor_b32_e32 v4, vcc_lo, v4
	v_and_b32_e32 v6, v6, v4
	v_lshlrev_b32_e32 v4, 24, v5
	v_cmp_gt_i64_e32 vcc, 0, v[3:4]
	v_not_b32_e32 v4, v4
	v_ashrrev_i32_e32 v4, 31, v4
	v_lshl_add_u32 v33, v5, 2, v27
	v_xor_b32_e32 v5, vcc_hi, v4
	v_xor_b32_e32 v4, vcc_lo, v4
	; wave barrier
	ds_read_b32 v32, v33 offset:4
	v_and_b32_e32 v7, v7, v34
	v_and_b32_e32 v4, v6, v4
	;; [unrolled: 1-line block ×3, first 2 shown]
	v_mbcnt_lo_u32_b32 v6, v4, 0
	v_mbcnt_hi_u32_b32 v34, v5, v6
	v_cmp_ne_u64_e32 vcc, 0, v[4:5]
	v_cmp_eq_u32_e64 s[18:19], 0, v34
	s_and_b64 s[30:31], vcc, s[18:19]
	; wave barrier
	s_and_saveexec_b64 s[18:19], s[30:31]
	s_cbranch_execz .LBB42_7
; %bb.6:                                ;   in Loop: Header=BB42_3 Depth=1
	v_bcnt_u32_b32 v4, v4, 0
	v_bcnt_u32_b32 v4, v5, v4
	s_waitcnt lgkmcnt(0)
	v_add_u32_e32 v4, v32, v4
	ds_write_b32 v33, v4 offset:4
.LBB42_7:                               ;   in Loop: Header=BB42_3 Depth=1
	s_or_b64 exec, exec, s[18:19]
	; wave barrier
	s_waitcnt lgkmcnt(0)
	; wave barrier
	ds_read2_b32 v[6:7], v11 offset0:1 offset1:2
	ds_read2_b32 v[4:5], v11 offset0:3 offset1:4
	s_waitcnt lgkmcnt(1)
	v_add_u32_e32 v35, v7, v6
	s_waitcnt lgkmcnt(0)
	v_add3_u32 v5, v35, v4, v5
	s_nop 1
	v_mov_b32_dpp v35, v5 row_shr:1 row_mask:0xf bank_mask:0xf
	v_cndmask_b32_e64 v35, v35, 0, s[8:9]
	v_add_u32_e32 v5, v35, v5
	s_nop 1
	v_mov_b32_dpp v35, v5 row_shr:2 row_mask:0xf bank_mask:0xf
	v_cndmask_b32_e64 v35, 0, v35, s[10:11]
	v_add_u32_e32 v5, v5, v35
	;; [unrolled: 4-line block ×4, first 2 shown]
	s_nop 1
	v_mov_b32_dpp v35, v5 row_bcast:15 row_mask:0xf bank_mask:0xf
	v_cndmask_b32_e64 v35, v35, 0, s[16:17]
	v_add_u32_e32 v5, v5, v35
	s_nop 1
	v_mov_b32_dpp v35, v5 row_bcast:31 row_mask:0xf bank_mask:0xf
	v_cndmask_b32_e64 v35, 0, v35, s[6:7]
	v_add_u32_e32 v5, v5, v35
	s_and_saveexec_b64 s[18:19], s[2:3]
; %bb.8:                                ;   in Loop: Header=BB42_3 Depth=1
	ds_write_b32 v3, v5
; %bb.9:                                ;   in Loop: Header=BB42_3 Depth=1
	s_or_b64 exec, exec, s[18:19]
	ds_bpermute_b32 v5, v25, v5
	s_waitcnt lgkmcnt(0)
	; wave barrier
	s_add_i32 s26, s26, 8
	s_cmp_ge_u32 s26, s27
	v_cndmask_b32_e64 v5, v5, 0, s[20:21]
	v_add_u32_e32 v6, v5, v6
	v_add_u32_e32 v7, v6, v7
	;; [unrolled: 1-line block ×3, first 2 shown]
	ds_write2_b32 v11, v5, v6 offset0:1 offset1:2
	ds_write2_b32 v11, v7, v4 offset0:3 offset1:4
	s_waitcnt lgkmcnt(0)
	; wave barrier
	ds_read_b32 v4, v30 offset:4
	ds_read_b32 v5, v33 offset:4
	s_mov_b64 s[18:19], -1
	v_readfirstlane_b32 s29, v0
	s_waitcnt lgkmcnt(0)
	v_add_u32_e32 v30, v4, v31
	v_add3_u32 v6, v34, v32, v5
	v_lshlrev_b32_e32 v31, 2, v30
	v_lshlrev_b32_e32 v32, 2, v6
                                        ; implicit-def: $vgpr5
                                        ; implicit-def: $vgpr7
	s_cbranch_scc1 .LBB42_2
; %bb.10:                               ;   in Loop: Header=BB42_3 Depth=1
	v_lshrrev_b16_e32 v7, 8, v26
	; wave barrier
	ds_write_b32 v31, v29
	ds_write_b32 v32, v28
	s_waitcnt lgkmcnt(0)
	; wave barrier
	ds_read2st64_b32 v[4:5], v12 offset1:1
	s_waitcnt lgkmcnt(0)
	; wave barrier
	ds_write_b8 v30, v26
	ds_write_b8 v6, v7
	s_waitcnt lgkmcnt(0)
	; wave barrier
	ds_read_u8 v7, v10 offset:64
	ds_read_u8 v33, v10
	s_add_i32 s29, s28, -8
	s_mov_b64 s[18:19], 0
	s_waitcnt lgkmcnt(0)
	; wave barrier
	v_perm_b32 v7, v33, v7, s25
	s_branch .LBB42_2
.LBB42_11:
	s_mov_b64 s[2:3], -1
                                        ; implicit-def: $vgpr7_vgpr8
	s_branch .LBB42_13
.LBB42_12:
	v_lshlrev_b32_e32 v3, 2, v9
	; wave barrier
	ds_write_b32 v31, v29
	ds_write_b32 v32, v28
	s_waitcnt lgkmcnt(0)
	; wave barrier
	ds_read_b64 v[7:8], v3
	v_lshrrev_b16_e32 v3, 8, v26
	s_waitcnt lgkmcnt(0)
	; wave barrier
	ds_write_b8 v30, v26
	ds_write_b8 v6, v3
	s_waitcnt lgkmcnt(0)
	; wave barrier
	s_mov_b64 s[2:3], 0
.LBB42_13:
	v_add_co_u32_e32 v3, vcc, s22, v13
	v_addc_co_u32_e32 v4, vcc, 0, v24, vcc
	v_add_co_u32_e32 v5, vcc, s24, v9
	v_addc_co_u32_e32 v6, vcc, 0, v21, vcc
	s_and_b64 vcc, exec, s[2:3]
	s_cbranch_vccz .LBB42_25
; %bb.14:
	ds_bpermute_b32 v7, v18, v22
	ds_bpermute_b32 v8, v18, v23
	;; [unrolled: 1-line block ×8, first 2 shown]
	s_waitcnt lgkmcnt(6)
	v_cndmask_b32_e64 v7, v8, v7, s[0:1]
	s_waitcnt lgkmcnt(4)
	v_cndmask_b32_e64 v8, v21, v13, s[0:1]
	s_waitcnt lgkmcnt(3)
	v_and_b32_e32 v13, 0xff, v22
	s_waitcnt lgkmcnt(2)
	v_and_b32_e32 v18, 0xff, v18
	s_waitcnt lgkmcnt(0)
	; wave barrier
	s_load_dword s2, s[4:5], 0x24
	v_cndmask_b32_e64 v13, v18, v13, s[0:1]
	v_lshlrev_b16_e32 v20, 8, v20
	v_or_b32_e32 v13, v13, v20
	v_cndmask_b32_e64 v18, v18, v13, s[0:1]
	v_lshlrev_b16_e32 v17, 8, v17
	v_or_b32_sdwa v17, v18, v17 dst_sel:DWORD dst_unused:UNUSED_PAD src0_sel:BYTE_0 src1_sel:DWORD
	v_cndmask_b32_e64 v13, v17, v13, s[0:1]
	s_waitcnt lgkmcnt(0)
	s_lshr_b32 s0, s2, 16
	s_and_b32 s1, s2, 0xffff
	v_mad_u32_u24 v1, v2, s0, v1
	v_subrev_co_u32_e32 v2, vcc, 1, v10
	v_mad_u32_u24 v1, v1, s1, v0
	v_cmp_lt_i32_e64 s[14:15], v2, v14
	v_cmp_eq_u32_e64 s[12:13], 63, v0
	v_cndmask_b32_e64 v2, v2, v10, s[14:15]
	v_cmp_eq_u32_e64 s[14:15], 0, v0
	v_lshrrev_b32_e32 v0, 4, v1
	v_and_b32_e32 v19, 0xffff, v13
	s_mov_b32 s18, 0
	v_cmp_eq_u32_e64 s[0:1], 0, v15
	v_cmp_lt_u32_e64 s[2:3], 1, v15
	v_cmp_lt_u32_e64 s[4:5], 3, v15
	;; [unrolled: 1-line block ×3, first 2 shown]
	v_cmp_eq_u32_e64 s[8:9], 0, v16
	v_cmp_lt_u32_e64 s[10:11], 31, v10
	v_lshlrev_b32_e32 v13, 2, v2
	s_or_b64 s[16:17], s[14:15], vcc
	v_and_b32_e32 v15, 0xffffffc, v0
	s_brev_b32 s19, 1
	v_mov_b32_e32 v0, 0
	s_mov_b32 s20, 0xc0c0004
	v_bfrev_b32_e32 v17, -2
	s_branch .LBB42_16
.LBB42_15:                              ;   in Loop: Header=BB42_16 Depth=1
	v_lshlrev_b32_e32 v7, 2, v2
	; wave barrier
	ds_write_b32 v7, v18
	v_lshlrev_b32_e32 v7, 2, v1
	v_lshrrev_b16_e32 v19, 8, v14
	ds_write_b32 v7, v16
	s_waitcnt lgkmcnt(0)
	; wave barrier
	ds_read2st64_b32 v[7:8], v12 offset1:1
	s_waitcnt lgkmcnt(0)
	; wave barrier
	ds_write_b8 v2, v14
	ds_write_b8 v1, v19
	s_waitcnt lgkmcnt(0)
	; wave barrier
	ds_read_u8 v19, v10 offset:64
	ds_read_u8 v20, v10
	s_add_i32 s18, s18, 8
	s_waitcnt lgkmcnt(0)
	; wave barrier
	v_perm_b32 v19, v20, v19, s20
	s_cbranch_execz .LBB42_24
.LBB42_16:                              ; =>This Inner Loop Header: Depth=1
	v_mov_b32_e32 v18, v7
	v_cmp_ne_u32_e32 vcc, s19, v18
	v_cndmask_b32_e32 v1, v17, v18, vcc
	v_lshrrev_b32_e32 v2, s18, v1
	v_and_b32_e32 v1, 0xff, v2
	v_mov_b32_e32 v14, v19
	v_lshl_add_u32 v19, v1, 2, v15
	v_and_b32_e32 v1, 1, v2
	v_add_co_u32_e32 v7, vcc, -1, v1
	v_mov_b32_e32 v16, v8
	v_addc_co_u32_e64 v8, s[14:15], 0, -1, vcc
	v_cmp_ne_u32_e32 vcc, 0, v1
	v_xor_b32_e32 v1, vcc_hi, v8
	v_and_b32_e32 v8, exec_hi, v1
	v_lshlrev_b32_e32 v1, 30, v2
	v_xor_b32_e32 v7, vcc_lo, v7
	v_cmp_gt_i64_e32 vcc, 0, v[0:1]
	v_not_b32_e32 v1, v1
	v_ashrrev_i32_e32 v1, 31, v1
	v_and_b32_e32 v7, exec_lo, v7
	v_xor_b32_e32 v20, vcc_hi, v1
	v_xor_b32_e32 v1, vcc_lo, v1
	v_and_b32_e32 v7, v7, v1
	v_lshlrev_b32_e32 v1, 29, v2
	v_cmp_gt_i64_e32 vcc, 0, v[0:1]
	v_not_b32_e32 v1, v1
	v_ashrrev_i32_e32 v1, 31, v1
	v_and_b32_e32 v8, v8, v20
	v_xor_b32_e32 v20, vcc_hi, v1
	v_xor_b32_e32 v1, vcc_lo, v1
	v_and_b32_e32 v7, v7, v1
	v_lshlrev_b32_e32 v1, 28, v2
	v_cmp_gt_i64_e32 vcc, 0, v[0:1]
	v_not_b32_e32 v1, v1
	v_ashrrev_i32_e32 v1, 31, v1
	v_and_b32_e32 v8, v8, v20
	;; [unrolled: 8-line block ×5, first 2 shown]
	v_xor_b32_e32 v20, vcc_hi, v1
	v_xor_b32_e32 v1, vcc_lo, v1
	v_and_b32_e32 v7, v7, v1
	v_lshlrev_b32_e32 v1, 24, v2
	v_cmp_gt_i64_e32 vcc, 0, v[0:1]
	v_not_b32_e32 v1, v1
	v_ashrrev_i32_e32 v1, 31, v1
	v_xor_b32_e32 v2, vcc_hi, v1
	v_xor_b32_e32 v1, vcc_lo, v1
	v_and_b32_e32 v8, v8, v20
	v_and_b32_e32 v1, v7, v1
	;; [unrolled: 1-line block ×3, first 2 shown]
	v_mbcnt_lo_u32_b32 v7, v1, 0
	v_mbcnt_hi_u32_b32 v20, v2, v7
	v_cmp_ne_u64_e32 vcc, 0, v[1:2]
	v_cmp_eq_u32_e64 s[14:15], 0, v20
	s_and_b64 s[22:23], vcc, s[14:15]
	ds_write2_b32 v11, v0, v0 offset0:1 offset1:2
	ds_write2_b32 v11, v0, v0 offset0:3 offset1:4
	s_waitcnt lgkmcnt(0)
	; wave barrier
	; wave barrier
	s_and_saveexec_b64 s[14:15], s[22:23]
; %bb.17:                               ;   in Loop: Header=BB42_16 Depth=1
	v_bcnt_u32_b32 v1, v1, 0
	v_bcnt_u32_b32 v1, v2, v1
	ds_write_b32 v19, v1 offset:4
; %bb.18:                               ;   in Loop: Header=BB42_16 Depth=1
	s_or_b64 exec, exec, s[14:15]
	v_cmp_ne_u32_e32 vcc, s19, v16
	v_cndmask_b32_e32 v1, v17, v16, vcc
	v_lshrrev_b32_e32 v2, s18, v1
	v_and_b32_e32 v1, 0xff, v2
	v_lshl_add_u32 v22, v1, 2, v15
	v_and_b32_e32 v1, 1, v2
	v_add_co_u32_e32 v7, vcc, -1, v1
	v_addc_co_u32_e64 v8, s[14:15], 0, -1, vcc
	v_cmp_ne_u32_e32 vcc, 0, v1
	v_xor_b32_e32 v1, vcc_hi, v8
	v_and_b32_e32 v8, exec_hi, v1
	v_lshlrev_b32_e32 v1, 30, v2
	v_xor_b32_e32 v7, vcc_lo, v7
	v_cmp_gt_i64_e32 vcc, 0, v[0:1]
	v_not_b32_e32 v1, v1
	v_ashrrev_i32_e32 v1, 31, v1
	v_and_b32_e32 v7, exec_lo, v7
	v_xor_b32_e32 v23, vcc_hi, v1
	v_xor_b32_e32 v1, vcc_lo, v1
	v_and_b32_e32 v7, v7, v1
	v_lshlrev_b32_e32 v1, 29, v2
	v_cmp_gt_i64_e32 vcc, 0, v[0:1]
	v_not_b32_e32 v1, v1
	v_ashrrev_i32_e32 v1, 31, v1
	v_and_b32_e32 v8, v8, v23
	v_xor_b32_e32 v23, vcc_hi, v1
	v_xor_b32_e32 v1, vcc_lo, v1
	v_and_b32_e32 v7, v7, v1
	v_lshlrev_b32_e32 v1, 28, v2
	v_cmp_gt_i64_e32 vcc, 0, v[0:1]
	v_not_b32_e32 v1, v1
	v_ashrrev_i32_e32 v1, 31, v1
	v_and_b32_e32 v8, v8, v23
	;; [unrolled: 8-line block ×5, first 2 shown]
	v_xor_b32_e32 v23, vcc_hi, v1
	v_xor_b32_e32 v1, vcc_lo, v1
	v_and_b32_e32 v7, v7, v1
	v_lshlrev_b32_e32 v1, 24, v2
	v_cmp_gt_i64_e32 vcc, 0, v[0:1]
	v_not_b32_e32 v1, v1
	v_ashrrev_i32_e32 v1, 31, v1
	v_xor_b32_e32 v2, vcc_hi, v1
	v_xor_b32_e32 v1, vcc_lo, v1
	; wave barrier
	ds_read_b32 v21, v22 offset:4
	v_and_b32_e32 v8, v8, v23
	v_and_b32_e32 v1, v7, v1
	;; [unrolled: 1-line block ×3, first 2 shown]
	v_mbcnt_lo_u32_b32 v7, v1, 0
	v_mbcnt_hi_u32_b32 v23, v2, v7
	v_cmp_ne_u64_e32 vcc, 0, v[1:2]
	v_cmp_eq_u32_e64 s[14:15], 0, v23
	s_and_b64 s[22:23], vcc, s[14:15]
	; wave barrier
	s_and_saveexec_b64 s[14:15], s[22:23]
	s_cbranch_execz .LBB42_20
; %bb.19:                               ;   in Loop: Header=BB42_16 Depth=1
	v_bcnt_u32_b32 v1, v1, 0
	v_bcnt_u32_b32 v1, v2, v1
	s_waitcnt lgkmcnt(0)
	v_add_u32_e32 v1, v21, v1
	ds_write_b32 v22, v1 offset:4
.LBB42_20:                              ;   in Loop: Header=BB42_16 Depth=1
	s_or_b64 exec, exec, s[14:15]
	; wave barrier
	s_waitcnt lgkmcnt(0)
	; wave barrier
	ds_read2_b32 v[7:8], v11 offset0:1 offset1:2
	ds_read2_b32 v[1:2], v11 offset0:3 offset1:4
	s_waitcnt lgkmcnt(1)
	v_add_u32_e32 v24, v8, v7
	s_waitcnt lgkmcnt(0)
	v_add3_u32 v2, v24, v1, v2
	s_nop 1
	v_mov_b32_dpp v24, v2 row_shr:1 row_mask:0xf bank_mask:0xf
	v_cndmask_b32_e64 v24, v24, 0, s[0:1]
	v_add_u32_e32 v2, v24, v2
	s_nop 1
	v_mov_b32_dpp v24, v2 row_shr:2 row_mask:0xf bank_mask:0xf
	v_cndmask_b32_e64 v24, 0, v24, s[2:3]
	v_add_u32_e32 v2, v2, v24
	;; [unrolled: 4-line block ×4, first 2 shown]
	s_nop 1
	v_mov_b32_dpp v24, v2 row_bcast:15 row_mask:0xf bank_mask:0xf
	v_cndmask_b32_e64 v24, v24, 0, s[8:9]
	v_add_u32_e32 v2, v2, v24
	s_nop 1
	v_mov_b32_dpp v24, v2 row_bcast:31 row_mask:0xf bank_mask:0xf
	v_cndmask_b32_e64 v24, 0, v24, s[10:11]
	v_add_u32_e32 v2, v2, v24
	s_and_saveexec_b64 s[14:15], s[12:13]
; %bb.21:                               ;   in Loop: Header=BB42_16 Depth=1
	ds_write_b32 v0, v2
; %bb.22:                               ;   in Loop: Header=BB42_16 Depth=1
	s_or_b64 exec, exec, s[14:15]
	ds_bpermute_b32 v2, v13, v2
	s_waitcnt lgkmcnt(0)
	; wave barrier
	s_cmp_gt_u32 s18, 23
	v_cndmask_b32_e64 v2, v2, 0, s[16:17]
	v_add_u32_e32 v7, v2, v7
	v_add_u32_e32 v8, v7, v8
	;; [unrolled: 1-line block ×3, first 2 shown]
	ds_write2_b32 v11, v2, v7 offset0:1 offset1:2
	ds_write2_b32 v11, v8, v1 offset0:3 offset1:4
	s_waitcnt lgkmcnt(0)
	; wave barrier
	ds_read_b32 v1, v19 offset:4
	ds_read_b32 v7, v22 offset:4
	s_waitcnt lgkmcnt(1)
	v_add_u32_e32 v2, v1, v20
	s_waitcnt lgkmcnt(0)
	v_add3_u32 v1, v23, v21, v7
	s_cbranch_scc0 .LBB42_15
; %bb.23:
                                        ; implicit-def: $vgpr8
                                        ; implicit-def: $sgpr18
                                        ; implicit-def: $vgpr19
.LBB42_24:
	v_lshlrev_b32_e32 v0, 2, v2
	; wave barrier
	ds_write_b32 v0, v18
	v_lshlrev_b32_e32 v0, 2, v1
	ds_write_b32 v0, v16
	v_lshlrev_b32_e32 v0, 2, v9
	s_waitcnt lgkmcnt(0)
	; wave barrier
	ds_read_b64 v[7:8], v0
	v_lshrrev_b16_e32 v0, 8, v14
	s_waitcnt lgkmcnt(0)
	; wave barrier
	ds_write_b8 v2, v14
	ds_write_b8 v1, v0
	s_waitcnt lgkmcnt(0)
	; wave barrier
.LBB42_25:
	v_bfrev_b32_e32 v1, -2
	v_cmp_gt_i32_e32 vcc, 0, v7
	ds_read_u16 v2, v9
	v_cndmask_b32_e64 v0, v1, 0, vcc
	v_cmp_gt_i32_e32 vcc, 0, v8
	v_cndmask_b32_e64 v1, v1, 0, vcc
	v_xor_b32_e32 v0, v0, v7
	v_xor_b32_e32 v1, v1, v8
	global_store_dwordx2 v[3:4], v[0:1], off
	s_waitcnt lgkmcnt(0)
	global_store_short v[5:6], v2, off
	s_endpgm
	.section	.rodata,"a",@progbits
	.p2align	6, 0x0
	.amdhsa_kernel _Z21sort_key_value_kernelILj64ELj2ELb0ELb1EfcEvPT3_PT4_jj
		.amdhsa_group_segment_fixed_size 1040
		.amdhsa_private_segment_fixed_size 0
		.amdhsa_kernarg_size 280
		.amdhsa_user_sgpr_count 6
		.amdhsa_user_sgpr_private_segment_buffer 1
		.amdhsa_user_sgpr_dispatch_ptr 0
		.amdhsa_user_sgpr_queue_ptr 0
		.amdhsa_user_sgpr_kernarg_segment_ptr 1
		.amdhsa_user_sgpr_dispatch_id 0
		.amdhsa_user_sgpr_flat_scratch_init 0
		.amdhsa_user_sgpr_private_segment_size 0
		.amdhsa_uses_dynamic_stack 0
		.amdhsa_system_sgpr_private_segment_wavefront_offset 0
		.amdhsa_system_sgpr_workgroup_id_x 1
		.amdhsa_system_sgpr_workgroup_id_y 0
		.amdhsa_system_sgpr_workgroup_id_z 0
		.amdhsa_system_sgpr_workgroup_info 0
		.amdhsa_system_vgpr_workitem_id 2
		.amdhsa_next_free_vgpr 36
		.amdhsa_next_free_sgpr 32
		.amdhsa_reserve_vcc 1
		.amdhsa_reserve_flat_scratch 0
		.amdhsa_float_round_mode_32 0
		.amdhsa_float_round_mode_16_64 0
		.amdhsa_float_denorm_mode_32 3
		.amdhsa_float_denorm_mode_16_64 3
		.amdhsa_dx10_clamp 1
		.amdhsa_ieee_mode 1
		.amdhsa_fp16_overflow 0
		.amdhsa_exception_fp_ieee_invalid_op 0
		.amdhsa_exception_fp_denorm_src 0
		.amdhsa_exception_fp_ieee_div_zero 0
		.amdhsa_exception_fp_ieee_overflow 0
		.amdhsa_exception_fp_ieee_underflow 0
		.amdhsa_exception_fp_ieee_inexact 0
		.amdhsa_exception_int_div_zero 0
	.end_amdhsa_kernel
	.section	.text._Z21sort_key_value_kernelILj64ELj2ELb0ELb1EfcEvPT3_PT4_jj,"axG",@progbits,_Z21sort_key_value_kernelILj64ELj2ELb0ELb1EfcEvPT3_PT4_jj,comdat
.Lfunc_end42:
	.size	_Z21sort_key_value_kernelILj64ELj2ELb0ELb1EfcEvPT3_PT4_jj, .Lfunc_end42-_Z21sort_key_value_kernelILj64ELj2ELb0ELb1EfcEvPT3_PT4_jj
                                        ; -- End function
	.set _Z21sort_key_value_kernelILj64ELj2ELb0ELb1EfcEvPT3_PT4_jj.num_vgpr, 36
	.set _Z21sort_key_value_kernelILj64ELj2ELb0ELb1EfcEvPT3_PT4_jj.num_agpr, 0
	.set _Z21sort_key_value_kernelILj64ELj2ELb0ELb1EfcEvPT3_PT4_jj.numbered_sgpr, 32
	.set _Z21sort_key_value_kernelILj64ELj2ELb0ELb1EfcEvPT3_PT4_jj.num_named_barrier, 0
	.set _Z21sort_key_value_kernelILj64ELj2ELb0ELb1EfcEvPT3_PT4_jj.private_seg_size, 0
	.set _Z21sort_key_value_kernelILj64ELj2ELb0ELb1EfcEvPT3_PT4_jj.uses_vcc, 1
	.set _Z21sort_key_value_kernelILj64ELj2ELb0ELb1EfcEvPT3_PT4_jj.uses_flat_scratch, 0
	.set _Z21sort_key_value_kernelILj64ELj2ELb0ELb1EfcEvPT3_PT4_jj.has_dyn_sized_stack, 0
	.set _Z21sort_key_value_kernelILj64ELj2ELb0ELb1EfcEvPT3_PT4_jj.has_recursion, 0
	.set _Z21sort_key_value_kernelILj64ELj2ELb0ELb1EfcEvPT3_PT4_jj.has_indirect_call, 0
	.section	.AMDGPU.csdata,"",@progbits
; Kernel info:
; codeLenInByte = 3472
; TotalNumSgprs: 36
; NumVgprs: 36
; ScratchSize: 0
; MemoryBound: 0
; FloatMode: 240
; IeeeMode: 1
; LDSByteSize: 1040 bytes/workgroup (compile time only)
; SGPRBlocks: 4
; VGPRBlocks: 8
; NumSGPRsForWavesPerEU: 36
; NumVGPRsForWavesPerEU: 36
; Occupancy: 7
; WaveLimiterHint : 0
; COMPUTE_PGM_RSRC2:SCRATCH_EN: 0
; COMPUTE_PGM_RSRC2:USER_SGPR: 6
; COMPUTE_PGM_RSRC2:TRAP_HANDLER: 0
; COMPUTE_PGM_RSRC2:TGID_X_EN: 1
; COMPUTE_PGM_RSRC2:TGID_Y_EN: 0
; COMPUTE_PGM_RSRC2:TGID_Z_EN: 0
; COMPUTE_PGM_RSRC2:TIDIG_COMP_CNT: 2
	.section	.text._Z21sort_key_value_kernelILj255ELj1ELb0ELb0EhfEvPT3_PT4_jj,"axG",@progbits,_Z21sort_key_value_kernelILj255ELj1ELb0ELb0EhfEvPT3_PT4_jj,comdat
	.protected	_Z21sort_key_value_kernelILj255ELj1ELb0ELb0EhfEvPT3_PT4_jj ; -- Begin function _Z21sort_key_value_kernelILj255ELj1ELb0ELb0EhfEvPT3_PT4_jj
	.globl	_Z21sort_key_value_kernelILj255ELj1ELb0ELb0EhfEvPT3_PT4_jj
	.p2align	8
	.type	_Z21sort_key_value_kernelILj255ELj1ELb0ELb0EhfEvPT3_PT4_jj,@function
_Z21sort_key_value_kernelILj255ELj1ELb0ELb0EhfEvPT3_PT4_jj: ; @_Z21sort_key_value_kernelILj255ELj1ELb0ELb0EhfEvPT3_PT4_jj
; %bb.0:
	s_load_dwordx4 s[0:3], s[4:5], 0x0
	s_load_dwordx2 s[38:39], s[4:5], 0x10
	s_mul_i32 s4, s6, 0xff
	s_mov_b32 s5, 0
	v_lshlrev_b32_e32 v14, 2, v0
	s_waitcnt lgkmcnt(0)
	s_add_u32 s34, s0, s4
	s_addc_u32 s35, s1, 0
	s_lshl_b64 s[0:1], s[4:5], 2
	s_add_u32 s36, s2, s0
	s_addc_u32 s37, s3, s1
	global_load_ubyte v17, v0, s[34:35]
	global_load_dword v16, v14, s[36:37]
	s_cmp_lg_u32 s38, 0
	s_cselect_b64 s[0:1], -1, 0
	s_cmp_lg_u32 s39, 8
	s_cselect_b64 s[2:3], -1, 0
	s_or_b64 s[0:1], s[0:1], s[2:3]
	s_movk_i32 s33, 0xff
	v_mov_b32_e32 v9, 0
	v_mov_b32_e32 v10, s35
	;; [unrolled: 1-line block ×3, first 2 shown]
	v_lshlrev_b32_e32 v13, 5, v0
	s_and_b64 vcc, exec, s[0:1]
	v_mbcnt_lo_u32_b32 v19, -1, 0
	v_cmp_gt_u32_e64 s[0:1], 4, v0
	v_cmp_lt_u32_e64 s[2:3], 63, v0
	v_lshrrev_b32_e32 v18, 4, v0
	s_cbranch_vccz .LBB43_16
; %bb.1:
	v_mbcnt_hi_u32_b32 v1, -1, v19
	v_and_b32_e32 v2, 15, v1
	v_cmp_eq_u32_e64 s[4:5], 0, v2
	v_cmp_lt_u32_e64 s[6:7], 1, v2
	v_cmp_lt_u32_e64 s[8:9], 3, v2
	;; [unrolled: 1-line block ×3, first 2 shown]
	v_and_b32_e32 v2, 16, v1
	v_cmp_eq_u32_e64 s[12:13], 0, v2
	v_and_b32_e32 v2, 0xc0, v0
	v_min_u32_e32 v2, 0xbf, v2
	v_add_u32_e32 v2, 63, v2
	v_cmp_eq_u32_e64 s[16:17], v0, v2
	v_subrev_co_u32_e64 v2, s[18:19], 1, v1
	v_and_b32_e32 v3, 64, v1
	v_cmp_lt_i32_e32 vcc, v2, v3
	v_cmp_lt_u32_e64 s[14:15], 31, v1
	v_cndmask_b32_e32 v2, v2, v1, vcc
	v_and_b32_e32 v1, 3, v1
	v_mad_u32_u24 v15, v0, 3, v0
	s_movk_i32 s24, 0x3fc
	s_movk_i32 s26, 0x2fd
	;; [unrolled: 1-line block ×3, first 2 shown]
	v_lshlrev_b32_e32 v11, 2, v2
	v_and_b32_e32 v20, 12, v18
	v_cmp_eq_u32_e64 s[20:21], 0, v1
	v_cmp_lt_u32_e64 s[22:23], 1, v1
	v_cmp_gt_u32_e64 s[24:25], s24, v0
	v_cmp_gt_u32_e64 s[26:27], s26, v0
	;; [unrolled: 1-line block ×4, first 2 shown]
	s_sub_i32 s35, s39, s38
	v_add_u32_e32 v22, 0x7f8, v15
	s_waitcnt vmcnt(0)
	v_mov_b32_e32 v4, v16
	v_mov_b32_e32 v3, v17
	s_branch .LBB43_3
.LBB43_2:                               ;   in Loop: Header=BB43_3 Depth=1
	s_andn2_b64 vcc, exec, s[40:41]
	s_cbranch_vccz .LBB43_17
.LBB43_3:                               ; =>This Inner Loop Header: Depth=1
	v_mov_b32_e32 v23, v3
	v_mov_b32_e32 v21, v4
	ds_write2_b32 v15, v9, v9 offset1:255
	ds_write2_b32 v22, v9, v9 offset1:255
	s_and_saveexec_b64 s[40:41], s[24:25]
	s_cbranch_execz .LBB43_8
; %bb.4:                                ;   in Loop: Header=BB43_3 Depth=1
	ds_write_b32 v15, v9 offset:4080
	s_and_b64 exec, exec, s[26:27]
	s_cbranch_execz .LBB43_8
; %bb.5:                                ;   in Loop: Header=BB43_3 Depth=1
	ds_write_b32 v15, v9 offset:5100
	s_and_b64 exec, exec, s[28:29]
	s_cbranch_execz .LBB43_8
; %bb.6:                                ;   in Loop: Header=BB43_3 Depth=1
	ds_write_b32 v15, v9 offset:6120
	s_and_b64 exec, exec, s[30:31]
; %bb.7:                                ;   in Loop: Header=BB43_3 Depth=1
	ds_write_b32 v15, v9 offset:7140
.LBB43_8:                               ;   in Loop: Header=BB43_3 Depth=1
	s_or_b64 exec, exec, s[40:41]
	s_min_u32 s37, s35, 4
	v_lshrrev_b32_sdwa v1, s38, v23 dst_sel:DWORD dst_unused:UNUSED_PAD src0_sel:DWORD src1_sel:BYTE_0
	v_bfe_u32 v1, v1, 0, s37
	v_and_b32_e32 v2, 7, v1
	v_lshrrev_b32_e32 v1, 2, v1
	v_mad_u32_u24 v2, v2, s33, v0
	v_and_b32_e32 v1, 30, v1
	v_lshl_add_u32 v25, v2, 2, v1
	ds_read_u16 v24, v25
	s_waitcnt lgkmcnt(0)
	v_add_u16_e32 v1, 1, v24
	ds_write_b16 v25, v1
	s_waitcnt lgkmcnt(0)
	s_barrier
	ds_read2_b64 v[5:8], v13 offset1:1
	ds_read2_b64 v[1:4], v13 offset0:2 offset1:3
	s_waitcnt lgkmcnt(1)
	v_add_u32_e32 v26, v6, v5
	v_add3_u32 v26, v26, v7, v8
	s_waitcnt lgkmcnt(0)
	v_add3_u32 v26, v26, v1, v2
	v_add3_u32 v4, v26, v3, v4
	s_nop 1
	v_mov_b32_dpp v26, v4 row_shr:1 row_mask:0xf bank_mask:0xf
	v_cndmask_b32_e64 v26, v26, 0, s[4:5]
	v_add_u32_e32 v4, v26, v4
	s_nop 1
	v_mov_b32_dpp v26, v4 row_shr:2 row_mask:0xf bank_mask:0xf
	v_cndmask_b32_e64 v26, 0, v26, s[6:7]
	v_add_u32_e32 v4, v4, v26
	;; [unrolled: 4-line block ×4, first 2 shown]
	s_nop 1
	v_mov_b32_dpp v26, v4 row_bcast:15 row_mask:0xf bank_mask:0xf
	v_cndmask_b32_e64 v26, v26, 0, s[12:13]
	v_add_u32_e32 v4, v4, v26
	s_nop 1
	v_mov_b32_dpp v26, v4 row_bcast:31 row_mask:0xf bank_mask:0xf
	v_cndmask_b32_e64 v26, 0, v26, s[14:15]
	v_add_u32_e32 v4, v4, v26
	s_and_saveexec_b64 s[40:41], s[16:17]
; %bb.9:                                ;   in Loop: Header=BB43_3 Depth=1
	ds_write_b32 v20, v4 offset:8160
; %bb.10:                               ;   in Loop: Header=BB43_3 Depth=1
	s_or_b64 exec, exec, s[40:41]
	s_waitcnt lgkmcnt(0)
	s_barrier
	s_and_saveexec_b64 s[40:41], s[0:1]
	s_cbranch_execz .LBB43_12
; %bb.11:                               ;   in Loop: Header=BB43_3 Depth=1
	ds_read_b32 v26, v14 offset:8160
	s_waitcnt lgkmcnt(0)
	s_nop 0
	v_mov_b32_dpp v27, v26 row_shr:1 row_mask:0xf bank_mask:0xf
	v_cndmask_b32_e64 v27, v27, 0, s[20:21]
	v_add_u32_e32 v26, v27, v26
	s_nop 1
	v_mov_b32_dpp v27, v26 row_shr:2 row_mask:0xf bank_mask:0xf
	v_cndmask_b32_e64 v27, 0, v27, s[22:23]
	v_add_u32_e32 v26, v26, v27
	ds_write_b32 v14, v26 offset:8160
.LBB43_12:                              ;   in Loop: Header=BB43_3 Depth=1
	s_or_b64 exec, exec, s[40:41]
	v_mov_b32_e32 v26, 0
	s_waitcnt lgkmcnt(0)
	s_barrier
	s_and_saveexec_b64 s[40:41], s[2:3]
; %bb.13:                               ;   in Loop: Header=BB43_3 Depth=1
	ds_read_b32 v26, v20 offset:8156
; %bb.14:                               ;   in Loop: Header=BB43_3 Depth=1
	s_or_b64 exec, exec, s[40:41]
	s_waitcnt lgkmcnt(0)
	v_add_u32_e32 v4, v26, v4
	ds_bpermute_b32 v4, v11, v4
	ds_read_b32 v27, v9 offset:8172
	s_add_i32 s38, s38, 4
	s_cmp_ge_u32 s38, s39
	s_mov_b64 s[40:41], -1
	s_waitcnt lgkmcnt(1)
	v_cndmask_b32_e64 v4, v4, v26, s[18:19]
	s_waitcnt lgkmcnt(0)
	v_lshl_add_u32 v4, v27, 16, v4
	v_add_u32_e32 v5, v4, v5
	v_add_u32_e32 v6, v5, v6
	;; [unrolled: 1-line block ×7, first 2 shown]
	ds_write2_b64 v13, v[4:5], v[6:7] offset1:1
	ds_write2_b64 v13, v[26:27], v[1:2] offset0:2 offset1:3
	s_waitcnt lgkmcnt(0)
	s_barrier
	ds_read_u16 v1, v25
	s_waitcnt lgkmcnt(0)
                                        ; implicit-def: $vgpr3
                                        ; implicit-def: $vgpr4
	v_add_u32_sdwa v1, v1, v24 dst_sel:DWORD dst_unused:UNUSED_PAD src0_sel:DWORD src1_sel:WORD_0
	v_mul_u32_u24_e32 v2, 3, v1
	s_cbranch_scc1 .LBB43_2
; %bb.15:                               ;   in Loop: Header=BB43_3 Depth=1
	v_add_u32_e32 v4, v1, v2
	s_barrier
	ds_write_b8 v1, v23
	s_waitcnt lgkmcnt(0)
	s_barrier
	ds_read_u8 v3, v0
	s_waitcnt lgkmcnt(0)
	s_barrier
	ds_write_b32 v4, v21
	s_waitcnt lgkmcnt(0)
	s_barrier
	ds_read_b32 v4, v15
	s_add_i32 s35, s35, -4
	s_mov_b64 s[40:41], 0
	s_waitcnt lgkmcnt(0)
	s_barrier
	s_branch .LBB43_2
.LBB43_16:
	s_mov_b64 s[0:1], -1
                                        ; implicit-def: $vgpr15
                                        ; implicit-def: $vgpr3
	s_branch .LBB43_18
.LBB43_17:
	s_barrier
	ds_write_b8 v1, v23
	s_waitcnt lgkmcnt(0)
	s_barrier
	ds_read_u8 v3, v0
	v_add_u32_e32 v1, v1, v2
	s_mov_b64 s[0:1], 0
	s_waitcnt lgkmcnt(0)
	s_barrier
	ds_write_b32 v1, v21
	s_waitcnt lgkmcnt(0)
	s_barrier
.LBB43_18:
	v_add_co_u32_e32 v9, vcc, s34, v0
	v_addc_co_u32_e32 v10, vcc, 0, v10, vcc
	v_add_co_u32_e32 v11, vcc, s36, v14
	v_addc_co_u32_e32 v12, vcc, 0, v12, vcc
	s_and_b64 vcc, exec, s[0:1]
	s_cbranch_vccz .LBB43_42
; %bb.19:
	s_movk_i32 s0, 0xffe4
	v_mad_i32_i24 v1, v0, s0, v13
	v_mov_b32_e32 v2, 0
	s_movk_i32 s0, 0x3fc
	ds_write2_b32 v1, v2, v2 offset1:255
	v_add_u32_e32 v1, 0x7f8, v1
	v_cmp_gt_u32_e64 s[2:3], s0, v0
	ds_write2_b32 v1, v2, v2 offset1:255
	s_and_saveexec_b64 s[0:1], s[2:3]
	s_cbranch_execz .LBB43_24
; %bb.20:
	v_mul_i32_i24_e32 v1, 0xffffffe4, v0
	s_movk_i32 s4, 0x2fd
	v_add_u32_e32 v1, v13, v1
	v_cmp_gt_u32_e32 vcc, s4, v0
	ds_write_b32 v1, v2 offset:4080
	s_and_b64 exec, exec, vcc
	s_cbranch_execz .LBB43_24
; %bb.21:
	s_movk_i32 s4, 0x1fe
	v_mov_b32_e32 v2, 0
	v_cmp_gt_u32_e32 vcc, s4, v0
	ds_write_b32 v1, v2 offset:5100
	s_and_b64 exec, exec, vcc
	s_cbranch_execz .LBB43_24
; %bb.22:
	s_movk_i32 s4, 0xff
	v_cmp_gt_u32_e32 vcc, s4, v0
	ds_write_b32 v1, v2 offset:6120
	s_and_b64 exec, exec, vcc
; %bb.23:
	v_mov_b32_e32 v2, 0
	ds_write_b32 v1, v2 offset:7140
.LBB43_24:
	s_or_b64 exec, exec, s[0:1]
	s_waitcnt vmcnt(1)
	v_lshrrev_b16_e32 v2, 2, v17
	v_and_b32_e32 v3, 7, v17
	s_movk_i32 s0, 0xff
	v_mad_u32_u24 v3, v3, s0, v0
	v_and_b32_e32 v2, 2, v2
	v_lshl_or_b32 v20, v3, 2, v2
	ds_read_u16 v21, v20
	v_mbcnt_hi_u32_b32 v22, -1, v19
	v_and_b32_e32 v1, 16, v22
	v_cmp_eq_u32_e32 vcc, 0, v1
	v_and_b32_e32 v1, 0xc0, v0
	s_waitcnt lgkmcnt(0)
	v_add_u16_e32 v2, 1, v21
	v_min_u32_e32 v1, 0xbf, v1
	ds_write_b16 v20, v2
	s_waitcnt vmcnt(0) lgkmcnt(0)
	s_barrier
	ds_read2_b64 v[5:8], v13 offset1:1
	v_add_u32_e32 v1, 63, v1
	v_cmp_eq_u32_e64 s[0:1], v0, v1
	ds_read2_b64 v[1:4], v13 offset0:2 offset1:3
	v_and_b32_e32 v19, 15, v22
	s_waitcnt lgkmcnt(1)
	v_add_u32_e32 v24, v6, v5
	v_add3_u32 v24, v24, v7, v8
	v_cmp_eq_u32_e64 s[8:9], 0, v19
	s_waitcnt lgkmcnt(0)
	v_add3_u32 v24, v24, v1, v2
	v_add3_u32 v4, v24, v3, v4
	v_cmp_lt_u32_e64 s[10:11], 1, v19
	v_cmp_lt_u32_e64 s[12:13], 3, v19
	v_mov_b32_dpp v24, v4 row_shr:1 row_mask:0xf bank_mask:0xf
	v_cndmask_b32_e64 v24, v24, 0, s[8:9]
	v_add_u32_e32 v4, v24, v4
	v_cmp_lt_u32_e64 s[16:17], 7, v19
	v_bfe_i32 v23, v22, 4, 1
	v_mov_b32_dpp v24, v4 row_shr:2 row_mask:0xf bank_mask:0xf
	v_cndmask_b32_e64 v24, 0, v24, s[10:11]
	v_add_u32_e32 v4, v4, v24
	v_cmp_lt_u32_e64 s[18:19], 31, v22
	v_and_b32_e32 v18, 12, v18
	v_mov_b32_dpp v24, v4 row_shr:4 row_mask:0xf bank_mask:0xf
	v_cndmask_b32_e64 v24, 0, v24, s[12:13]
	v_add_u32_e32 v4, v4, v24
	v_mul_u32_u24_e32 v15, 3, v0
	s_nop 0
	v_mov_b32_dpp v24, v4 row_shr:8 row_mask:0xf bank_mask:0xf
	v_cndmask_b32_e64 v19, 0, v24, s[16:17]
	v_add_u32_e32 v4, v4, v19
	s_nop 1
	v_mov_b32_dpp v19, v4 row_bcast:15 row_mask:0xf bank_mask:0xf
	v_and_b32_e32 v19, v23, v19
	v_add_u32_e32 v4, v4, v19
	s_nop 1
	v_mov_b32_dpp v19, v4 row_bcast:31 row_mask:0xf bank_mask:0xf
	v_cndmask_b32_e64 v19, 0, v19, s[18:19]
	v_add_u32_e32 v23, v4, v19
	s_and_saveexec_b64 s[4:5], s[0:1]
; %bb.25:
	ds_write_b32 v18, v23 offset:8160
; %bb.26:
	s_or_b64 exec, exec, s[4:5]
	v_and_b32_e32 v4, 3, v22
	v_cmp_gt_u32_e64 s[14:15], 4, v0
	v_add_u32_e32 v15, v0, v15
	v_cmp_eq_u32_e64 s[6:7], 0, v4
	v_cmp_lt_u32_e64 s[4:5], 1, v4
	s_waitcnt lgkmcnt(0)
	s_barrier
	s_and_saveexec_b64 s[20:21], s[14:15]
	s_cbranch_execz .LBB43_28
; %bb.27:
	ds_read_b32 v4, v15 offset:8160
	s_waitcnt lgkmcnt(0)
	s_nop 0
	v_mov_b32_dpp v19, v4 row_shr:1 row_mask:0xf bank_mask:0xf
	v_cndmask_b32_e64 v19, v19, 0, s[6:7]
	v_add_u32_e32 v4, v19, v4
	s_nop 1
	v_mov_b32_dpp v19, v4 row_shr:2 row_mask:0xf bank_mask:0xf
	v_cndmask_b32_e64 v19, 0, v19, s[4:5]
	v_add_u32_e32 v4, v4, v19
	ds_write_b32 v15, v4 offset:8160
.LBB43_28:
	s_or_b64 exec, exec, s[20:21]
	v_cmp_lt_u32_e64 s[20:21], 63, v0
	v_mov_b32_e32 v4, 0
	v_mov_b32_e32 v24, 0
	s_waitcnt lgkmcnt(0)
	s_barrier
	s_and_saveexec_b64 s[22:23], s[20:21]
; %bb.29:
	ds_read_b32 v24, v18 offset:8156
; %bb.30:
	s_or_b64 exec, exec, s[22:23]
	v_add_u32_e32 v19, -1, v22
	v_and_b32_e32 v25, 64, v22
	v_cmp_lt_i32_e64 s[22:23], v19, v25
	v_cndmask_b32_e64 v19, v19, v22, s[22:23]
	v_lshlrev_b32_e32 v19, 2, v19
	s_waitcnt lgkmcnt(0)
	v_add_u32_e32 v23, v24, v23
	ds_bpermute_b32 v23, v19, v23
	ds_read_b32 v25, v4 offset:8172
	v_cmp_eq_u32_e64 s[22:23], 0, v22
	s_waitcnt lgkmcnt(1)
	v_cndmask_b32_e64 v22, v23, v24, s[22:23]
	s_waitcnt lgkmcnt(0)
	v_lshl_add_u32 v22, v25, 16, v22
	v_add_u32_e32 v23, v22, v5
	v_add_u32_e32 v5, v23, v6
	;; [unrolled: 1-line block ×7, first 2 shown]
	ds_write2_b64 v13, v[22:23], v[5:6] offset1:1
	ds_write2_b64 v13, v[7:8], v[1:2] offset0:2 offset1:3
	s_waitcnt lgkmcnt(0)
	s_barrier
	ds_read_u16 v1, v20
	s_waitcnt lgkmcnt(0)
	s_barrier
	v_add_u32_sdwa v1, v1, v21 dst_sel:DWORD dst_unused:UNUSED_PAD src0_sel:DWORD src1_sel:WORD_0
	ds_write_b8 v1, v17
	v_mad_u32_u24 v1, v1, 3, v1
	s_waitcnt lgkmcnt(0)
	s_barrier
	ds_read_u8 v17, v0
	s_waitcnt lgkmcnt(0)
	s_barrier
	ds_write_b32 v1, v16
	s_waitcnt lgkmcnt(0)
	s_barrier
	ds_read_b32 v16, v15
	v_add_u32_e32 v1, 0x7f8, v14
	s_waitcnt lgkmcnt(0)
	s_barrier
	ds_write2_b32 v14, v4, v4 offset1:255
	ds_write2_b32 v1, v4, v4 offset1:255
	s_and_saveexec_b64 s[24:25], s[2:3]
	s_cbranch_execz .LBB43_35
; %bb.31:
	s_movk_i32 s2, 0x2fd
	v_mov_b32_e32 v1, 0
	v_cmp_gt_u32_e64 s[2:3], s2, v0
	ds_write_b32 v14, v1 offset:4080
	s_and_b64 exec, exec, s[2:3]
	s_cbranch_execz .LBB43_35
; %bb.32:
	s_movk_i32 s2, 0x1fe
	v_cmp_gt_u32_e64 s[2:3], s2, v0
	ds_write_b32 v14, v1 offset:5100
	s_and_b64 exec, exec, s[2:3]
	s_cbranch_execz .LBB43_35
; %bb.33:
	s_movk_i32 s2, 0xff
	v_mov_b32_e32 v1, 0
	v_cmp_gt_u32_e64 s[2:3], s2, v0
	ds_write_b32 v14, v1 offset:6120
	s_and_b64 exec, exec, s[2:3]
; %bb.34:
	ds_write_b32 v14, v1 offset:7140
.LBB43_35:
	s_or_b64 exec, exec, s[24:25]
	v_lshrrev_b16_e32 v1, 4, v17
	v_and_b32_e32 v1, 15, v1
	v_mov_b32_e32 v2, 7
	v_mov_b32_e32 v3, 2
	v_and_b32_sdwa v2, v1, v2 dst_sel:DWORD dst_unused:UNUSED_PAD src0_sel:WORD_0 src1_sel:DWORD
	s_movk_i32 s2, 0xff
	v_lshrrev_b32_sdwa v1, v3, v1 dst_sel:DWORD dst_unused:UNUSED_PAD src0_sel:DWORD src1_sel:WORD_0
	v_mad_u32_u24 v2, v2, s2, v0
	v_and_b32_e32 v1, 2, v1
	v_lshl_or_b32 v20, v2, 2, v1
	ds_read_u16 v14, v20
	s_waitcnt lgkmcnt(0)
	v_add_u16_e32 v1, 1, v14
	ds_write_b16 v20, v1
	s_waitcnt lgkmcnt(0)
	s_barrier
	ds_read2_b64 v[5:8], v13 offset1:1
	ds_read2_b64 v[1:4], v13 offset0:2 offset1:3
	s_waitcnt lgkmcnt(1)
	v_add_u32_e32 v21, v6, v5
	v_add3_u32 v21, v21, v7, v8
	s_waitcnt lgkmcnt(0)
	v_add3_u32 v21, v21, v1, v2
	v_add3_u32 v4, v21, v3, v4
	s_nop 1
	v_mov_b32_dpp v21, v4 row_shr:1 row_mask:0xf bank_mask:0xf
	v_cndmask_b32_e64 v21, v21, 0, s[8:9]
	v_add_u32_e32 v4, v21, v4
	s_nop 1
	v_mov_b32_dpp v21, v4 row_shr:2 row_mask:0xf bank_mask:0xf
	v_cndmask_b32_e64 v21, 0, v21, s[10:11]
	v_add_u32_e32 v4, v4, v21
	;; [unrolled: 4-line block ×4, first 2 shown]
	s_nop 1
	v_mov_b32_dpp v21, v4 row_bcast:15 row_mask:0xf bank_mask:0xf
	v_cndmask_b32_e64 v21, v21, 0, vcc
	v_add_u32_e32 v4, v4, v21
	s_nop 1
	v_mov_b32_dpp v21, v4 row_bcast:31 row_mask:0xf bank_mask:0xf
	v_cndmask_b32_e64 v21, 0, v21, s[18:19]
	v_add_u32_e32 v4, v4, v21
	s_and_saveexec_b64 s[2:3], s[0:1]
; %bb.36:
	ds_write_b32 v18, v4 offset:8160
; %bb.37:
	s_or_b64 exec, exec, s[2:3]
	s_waitcnt lgkmcnt(0)
	s_barrier
	s_and_saveexec_b64 s[0:1], s[14:15]
	s_cbranch_execz .LBB43_39
; %bb.38:
	ds_read_b32 v21, v15 offset:8160
	s_waitcnt lgkmcnt(0)
	s_nop 0
	v_mov_b32_dpp v22, v21 row_shr:1 row_mask:0xf bank_mask:0xf
	v_cndmask_b32_e64 v22, v22, 0, s[6:7]
	v_add_u32_e32 v21, v22, v21
	s_nop 1
	v_mov_b32_dpp v22, v21 row_shr:2 row_mask:0xf bank_mask:0xf
	v_cndmask_b32_e64 v22, 0, v22, s[4:5]
	v_add_u32_e32 v21, v21, v22
	ds_write_b32 v15, v21 offset:8160
.LBB43_39:
	s_or_b64 exec, exec, s[0:1]
	v_mov_b32_e32 v21, 0
	v_mov_b32_e32 v22, 0
	s_waitcnt lgkmcnt(0)
	s_barrier
	s_and_saveexec_b64 s[0:1], s[20:21]
; %bb.40:
	ds_read_b32 v22, v18 offset:8156
; %bb.41:
	s_or_b64 exec, exec, s[0:1]
	s_waitcnt lgkmcnt(0)
	v_add_u32_e32 v4, v22, v4
	ds_bpermute_b32 v4, v19, v4
	ds_read_b32 v18, v21 offset:8172
	s_waitcnt lgkmcnt(1)
	v_cndmask_b32_e64 v4, v4, v22, s[22:23]
	s_waitcnt lgkmcnt(0)
	v_lshl_add_u32 v4, v18, 16, v4
	v_add_u32_e32 v5, v4, v5
	v_add_u32_e32 v6, v5, v6
	;; [unrolled: 1-line block ×7, first 2 shown]
	ds_write2_b64 v13, v[4:5], v[6:7] offset1:1
	ds_write2_b64 v13, v[18:19], v[1:2] offset0:2 offset1:3
	s_waitcnt lgkmcnt(0)
	s_barrier
	ds_read_u16 v1, v20
	s_waitcnt lgkmcnt(0)
	s_barrier
	v_add_u32_sdwa v1, v1, v14 dst_sel:DWORD dst_unused:UNUSED_PAD src0_sel:DWORD src1_sel:WORD_0
	ds_write_b8 v1, v17
	s_waitcnt lgkmcnt(0)
	s_barrier
	ds_read_u8 v3, v0
	v_mad_u32_u24 v0, v1, 3, v1
	s_waitcnt lgkmcnt(0)
	s_barrier
	ds_write_b32 v0, v16
	s_waitcnt lgkmcnt(0)
	s_barrier
.LBB43_42:
	ds_read_b32 v0, v15
	global_store_byte v[9:10], v3, off
	s_waitcnt lgkmcnt(0)
	global_store_dword v[11:12], v0, off
	s_endpgm
	.section	.rodata,"a",@progbits
	.p2align	6, 0x0
	.amdhsa_kernel _Z21sort_key_value_kernelILj255ELj1ELb0ELb0EhfEvPT3_PT4_jj
		.amdhsa_group_segment_fixed_size 8176
		.amdhsa_private_segment_fixed_size 0
		.amdhsa_kernarg_size 24
		.amdhsa_user_sgpr_count 6
		.amdhsa_user_sgpr_private_segment_buffer 1
		.amdhsa_user_sgpr_dispatch_ptr 0
		.amdhsa_user_sgpr_queue_ptr 0
		.amdhsa_user_sgpr_kernarg_segment_ptr 1
		.amdhsa_user_sgpr_dispatch_id 0
		.amdhsa_user_sgpr_flat_scratch_init 0
		.amdhsa_user_sgpr_private_segment_size 0
		.amdhsa_uses_dynamic_stack 0
		.amdhsa_system_sgpr_private_segment_wavefront_offset 0
		.amdhsa_system_sgpr_workgroup_id_x 1
		.amdhsa_system_sgpr_workgroup_id_y 0
		.amdhsa_system_sgpr_workgroup_id_z 0
		.amdhsa_system_sgpr_workgroup_info 0
		.amdhsa_system_vgpr_workitem_id 0
		.amdhsa_next_free_vgpr 29
		.amdhsa_next_free_sgpr 61
		.amdhsa_reserve_vcc 1
		.amdhsa_reserve_flat_scratch 0
		.amdhsa_float_round_mode_32 0
		.amdhsa_float_round_mode_16_64 0
		.amdhsa_float_denorm_mode_32 3
		.amdhsa_float_denorm_mode_16_64 3
		.amdhsa_dx10_clamp 1
		.amdhsa_ieee_mode 1
		.amdhsa_fp16_overflow 0
		.amdhsa_exception_fp_ieee_invalid_op 0
		.amdhsa_exception_fp_denorm_src 0
		.amdhsa_exception_fp_ieee_div_zero 0
		.amdhsa_exception_fp_ieee_overflow 0
		.amdhsa_exception_fp_ieee_underflow 0
		.amdhsa_exception_fp_ieee_inexact 0
		.amdhsa_exception_int_div_zero 0
	.end_amdhsa_kernel
	.section	.text._Z21sort_key_value_kernelILj255ELj1ELb0ELb0EhfEvPT3_PT4_jj,"axG",@progbits,_Z21sort_key_value_kernelILj255ELj1ELb0ELb0EhfEvPT3_PT4_jj,comdat
.Lfunc_end43:
	.size	_Z21sort_key_value_kernelILj255ELj1ELb0ELb0EhfEvPT3_PT4_jj, .Lfunc_end43-_Z21sort_key_value_kernelILj255ELj1ELb0ELb0EhfEvPT3_PT4_jj
                                        ; -- End function
	.set _Z21sort_key_value_kernelILj255ELj1ELb0ELb0EhfEvPT3_PT4_jj.num_vgpr, 28
	.set _Z21sort_key_value_kernelILj255ELj1ELb0ELb0EhfEvPT3_PT4_jj.num_agpr, 0
	.set _Z21sort_key_value_kernelILj255ELj1ELb0ELb0EhfEvPT3_PT4_jj.numbered_sgpr, 42
	.set _Z21sort_key_value_kernelILj255ELj1ELb0ELb0EhfEvPT3_PT4_jj.num_named_barrier, 0
	.set _Z21sort_key_value_kernelILj255ELj1ELb0ELb0EhfEvPT3_PT4_jj.private_seg_size, 0
	.set _Z21sort_key_value_kernelILj255ELj1ELb0ELb0EhfEvPT3_PT4_jj.uses_vcc, 1
	.set _Z21sort_key_value_kernelILj255ELj1ELb0ELb0EhfEvPT3_PT4_jj.uses_flat_scratch, 0
	.set _Z21sort_key_value_kernelILj255ELj1ELb0ELb0EhfEvPT3_PT4_jj.has_dyn_sized_stack, 0
	.set _Z21sort_key_value_kernelILj255ELj1ELb0ELb0EhfEvPT3_PT4_jj.has_recursion, 0
	.set _Z21sort_key_value_kernelILj255ELj1ELb0ELb0EhfEvPT3_PT4_jj.has_indirect_call, 0
	.section	.AMDGPU.csdata,"",@progbits
; Kernel info:
; codeLenInByte = 2872
; TotalNumSgprs: 46
; NumVgprs: 28
; ScratchSize: 0
; MemoryBound: 0
; FloatMode: 240
; IeeeMode: 1
; LDSByteSize: 8176 bytes/workgroup (compile time only)
; SGPRBlocks: 8
; VGPRBlocks: 7
; NumSGPRsForWavesPerEU: 65
; NumVGPRsForWavesPerEU: 29
; Occupancy: 8
; WaveLimiterHint : 0
; COMPUTE_PGM_RSRC2:SCRATCH_EN: 0
; COMPUTE_PGM_RSRC2:USER_SGPR: 6
; COMPUTE_PGM_RSRC2:TRAP_HANDLER: 0
; COMPUTE_PGM_RSRC2:TGID_X_EN: 1
; COMPUTE_PGM_RSRC2:TGID_Y_EN: 0
; COMPUTE_PGM_RSRC2:TGID_Z_EN: 0
; COMPUTE_PGM_RSRC2:TIDIG_COMP_CNT: 0
	.section	.text._Z21sort_key_value_kernelILj162ELj1ELb1ELb0EjxEvPT3_PT4_jj,"axG",@progbits,_Z21sort_key_value_kernelILj162ELj1ELb1ELb0EjxEvPT3_PT4_jj,comdat
	.protected	_Z21sort_key_value_kernelILj162ELj1ELb1ELb0EjxEvPT3_PT4_jj ; -- Begin function _Z21sort_key_value_kernelILj162ELj1ELb1ELb0EjxEvPT3_PT4_jj
	.globl	_Z21sort_key_value_kernelILj162ELj1ELb1ELb0EjxEvPT3_PT4_jj
	.p2align	8
	.type	_Z21sort_key_value_kernelILj162ELj1ELb1ELb0EjxEvPT3_PT4_jj,@function
_Z21sort_key_value_kernelILj162ELj1ELb1ELb0EjxEvPT3_PT4_jj: ; @_Z21sort_key_value_kernelILj162ELj1ELb1ELb0EjxEvPT3_PT4_jj
; %bb.0:
	s_load_dwordx4 s[0:3], s[4:5], 0x0
	s_load_dwordx2 s[42:43], s[4:5], 0x10
	s_mul_i32 s4, s6, 0xa2
	s_mov_b32 s5, 0
	s_lshl_b64 s[6:7], s[4:5], 2
	s_waitcnt lgkmcnt(0)
	s_add_u32 s38, s0, s6
	s_addc_u32 s39, s1, s7
	s_lshl_b64 s[0:1], s[4:5], 3
	s_add_u32 s40, s2, s0
	v_lshlrev_b32_e32 v20, 2, v0
	s_addc_u32 s41, s3, s1
	v_lshlrev_b32_e32 v11, 3, v0
	global_load_dword v21, v20, s[38:39]
	global_load_dwordx2 v[13:14], v11, s[40:41]
	v_mbcnt_lo_u32_b32 v1, -1, 0
	v_mbcnt_hi_u32_b32 v1, -1, v1
	v_and_b32_e32 v2, 15, v1
	v_cmp_eq_u32_e64 s[22:23], 0, v2
	v_cmp_lt_u32_e64 s[20:21], 1, v2
	v_cmp_lt_u32_e64 s[18:19], 3, v2
	;; [unrolled: 1-line block ×3, first 2 shown]
	v_and_b32_e32 v2, 16, v1
	s_cmp_eq_u32 s42, 0
	v_cmp_eq_u32_e64 s[14:15], 0, v2
	v_and_b32_e32 v2, 0xc0, v0
	s_cselect_b64 s[0:1], -1, 0
	s_cmp_eq_u32 s43, 32
	v_min_u32_e32 v2, 0x62, v2
	s_cselect_b64 s[2:3], -1, 0
	v_add_u32_e32 v2, 63, v2
	s_and_b64 s[24:25], s[0:1], s[2:3]
	v_cmp_eq_u32_e64 s[12:13], v0, v2
	v_subrev_co_u32_e64 v2, s[0:1], 1, v1
	v_and_b32_e32 v3, 64, v1
	v_cmp_lt_i32_e32 vcc, v2, v3
	v_lshlrev_b32_e32 v16, 5, v0
	v_cndmask_b32_e32 v2, v2, v1, vcc
	s_movk_i32 s6, 0xffe4
	v_cmp_lt_u32_e64 s[10:11], 31, v1
	v_lshlrev_b32_e32 v18, 2, v2
	v_lshrrev_b32_e32 v2, 4, v0
	v_mad_i32_i24 v17, v0, s6, v16
	v_and_b32_e32 v1, 3, v1
	s_movk_i32 s33, 0xa2
	v_mov_b32_e32 v23, 0
	v_mov_b32_e32 v22, s39
	;; [unrolled: 1-line block ×3, first 2 shown]
	v_cmp_gt_u32_e64 s[4:5], 3, v0
	v_cmp_lt_u32_e64 s[2:3], 63, v0
	v_and_b32_e32 v19, 12, v2
	v_cmp_eq_u32_e64 s[8:9], 0, v1
	v_cmp_lt_u32_e64 s[6:7], 1, v1
	v_add_u32_e32 v15, v17, v20
	s_and_b64 vcc, exec, s[24:25]
	s_cbranch_vccnz .LBB44_18
; %bb.1:
	s_movk_i32 s24, 0x3cc
	s_movk_i32 s26, 0x32a
	;; [unrolled: 1-line block ×5, first 2 shown]
	s_sub_i32 s39, s43, s42
	s_waitcnt vmcnt(0)
	v_mov_b32_e32 v1, v13
	v_cmp_gt_u32_e64 s[24:25], s24, v0
	v_cmp_gt_u32_e64 s[26:27], s26, v0
	;; [unrolled: 1-line block ×6, first 2 shown]
	v_mov_b32_e32 v24, s39
	v_mov_b32_e32 v2, v14
	;; [unrolled: 1-line block ×3, first 2 shown]
	s_branch .LBB44_3
.LBB44_2:                               ;   in Loop: Header=BB44_3 Depth=1
	s_andn2_b64 vcc, exec, s[44:45]
	s_cbranch_vccz .LBB44_19
.LBB44_3:                               ; =>This Inner Loop Header: Depth=1
	v_mov_b32_e32 v10, v2
	v_mov_b32_e32 v25, v4
	;; [unrolled: 1-line block ×3, first 2 shown]
	ds_write2_b32 v20, v23, v23 offset1:162
	s_and_saveexec_b64 s[44:45], s[24:25]
	s_cbranch_execz .LBB44_10
; %bb.4:                                ;   in Loop: Header=BB44_3 Depth=1
	ds_write_b32 v20, v23 offset:1296
	s_and_b64 exec, exec, s[26:27]
	s_cbranch_execz .LBB44_10
; %bb.5:                                ;   in Loop: Header=BB44_3 Depth=1
	ds_write_b32 v20, v23 offset:1944
	s_and_b64 exec, exec, s[28:29]
	;; [unrolled: 4-line block ×5, first 2 shown]
; %bb.9:                                ;   in Loop: Header=BB44_3 Depth=1
	ds_write_b32 v20, v23 offset:4536
.LBB44_10:                              ;   in Loop: Header=BB44_3 Depth=1
	s_or_b64 exec, exec, s[44:45]
	v_min_u32_e32 v1, 4, v24
	v_lshrrev_b32_e32 v2, s42, v25
	v_bfe_u32 v1, v2, 0, v1
	v_and_b32_e32 v2, 7, v1
	v_lshrrev_b32_e32 v1, 2, v1
	v_mad_u32_u24 v2, v2, s33, v0
	v_and_b32_e32 v1, 30, v1
	v_lshl_add_u32 v26, v2, 2, v1
	ds_read_u16 v27, v26
	s_waitcnt lgkmcnt(0)
	v_add_u16_e32 v1, 1, v27
	ds_write_b16 v26, v1
	s_waitcnt lgkmcnt(0)
	s_barrier
	ds_read2_b64 v[5:8], v16 offset1:1
	ds_read2_b64 v[1:4], v16 offset0:2 offset1:3
	s_waitcnt lgkmcnt(1)
	v_add_u32_e32 v28, v6, v5
	v_add3_u32 v28, v28, v7, v8
	s_waitcnt lgkmcnt(0)
	v_add3_u32 v28, v28, v1, v2
	v_add3_u32 v4, v28, v3, v4
	s_nop 1
	v_mov_b32_dpp v28, v4 row_shr:1 row_mask:0xf bank_mask:0xf
	v_cndmask_b32_e64 v28, v28, 0, s[22:23]
	v_add_u32_e32 v4, v28, v4
	s_nop 1
	v_mov_b32_dpp v28, v4 row_shr:2 row_mask:0xf bank_mask:0xf
	v_cndmask_b32_e64 v28, 0, v28, s[20:21]
	v_add_u32_e32 v4, v4, v28
	;; [unrolled: 4-line block ×4, first 2 shown]
	s_nop 1
	v_mov_b32_dpp v28, v4 row_bcast:15 row_mask:0xf bank_mask:0xf
	v_cndmask_b32_e64 v28, v28, 0, s[14:15]
	v_add_u32_e32 v4, v4, v28
	s_nop 1
	v_mov_b32_dpp v28, v4 row_bcast:31 row_mask:0xf bank_mask:0xf
	v_cndmask_b32_e64 v28, 0, v28, s[10:11]
	v_add_u32_e32 v4, v4, v28
	s_and_saveexec_b64 s[44:45], s[12:13]
; %bb.11:                               ;   in Loop: Header=BB44_3 Depth=1
	ds_write_b32 v19, v4 offset:5184
; %bb.12:                               ;   in Loop: Header=BB44_3 Depth=1
	s_or_b64 exec, exec, s[44:45]
	s_waitcnt lgkmcnt(0)
	s_barrier
	s_and_saveexec_b64 s[44:45], s[4:5]
	s_cbranch_execz .LBB44_14
; %bb.13:                               ;   in Loop: Header=BB44_3 Depth=1
	ds_read_b32 v28, v17 offset:5184
	s_waitcnt lgkmcnt(0)
	s_nop 0
	v_mov_b32_dpp v29, v28 row_shr:1 row_mask:0xf bank_mask:0xf
	v_cndmask_b32_e64 v29, v29, 0, s[8:9]
	v_add_u32_e32 v28, v29, v28
	s_nop 1
	v_mov_b32_dpp v29, v28 row_shr:2 row_mask:0xf bank_mask:0xf
	v_cndmask_b32_e64 v29, 0, v29, s[6:7]
	v_add_u32_e32 v28, v28, v29
	ds_write_b32 v17, v28 offset:5184
.LBB44_14:                              ;   in Loop: Header=BB44_3 Depth=1
	s_or_b64 exec, exec, s[44:45]
	v_mov_b32_e32 v28, 0
	s_waitcnt lgkmcnt(0)
	s_barrier
	s_and_saveexec_b64 s[44:45], s[2:3]
; %bb.15:                               ;   in Loop: Header=BB44_3 Depth=1
	ds_read_b32 v28, v19 offset:5180
; %bb.16:                               ;   in Loop: Header=BB44_3 Depth=1
	s_or_b64 exec, exec, s[44:45]
	s_waitcnt lgkmcnt(0)
	v_add_u32_e32 v4, v28, v4
	ds_bpermute_b32 v4, v18, v4
	ds_read_b32 v29, v23 offset:5192
	s_add_i32 s42, s42, 4
	s_cmp_ge_u32 s42, s43
	s_mov_b64 s[44:45], -1
	s_waitcnt lgkmcnt(1)
	v_cndmask_b32_e64 v4, v4, v28, s[0:1]
	s_waitcnt lgkmcnt(0)
	v_lshl_add_u32 v4, v29, 16, v4
	v_add_u32_e32 v5, v4, v5
	v_add_u32_e32 v6, v5, v6
	;; [unrolled: 1-line block ×7, first 2 shown]
	ds_write2_b64 v16, v[4:5], v[6:7] offset1:1
	ds_write2_b64 v16, v[28:29], v[1:2] offset0:2 offset1:3
	s_waitcnt lgkmcnt(0)
	s_barrier
	ds_read_u16 v1, v26
	v_and_b32_e32 v2, 0xffff, v27
	s_waitcnt lgkmcnt(0)
                                        ; implicit-def: $vgpr4
	v_add_lshl_u32 v3, v1, v2, 2
                                        ; implicit-def: $vgpr1_vgpr2
	s_cbranch_scc1 .LBB44_2
; %bb.17:                               ;   in Loop: Header=BB44_3 Depth=1
	v_add_u32_e32 v1, v3, v3
	s_barrier
	ds_write_b32 v3, v25
	s_waitcnt lgkmcnt(0)
	s_barrier
	ds_read_b32 v4, v17
	s_waitcnt lgkmcnt(0)
	s_barrier
	ds_write_b64 v1, v[9:10]
	s_waitcnt lgkmcnt(0)
	s_barrier
	ds_read_b64 v[1:2], v15
	v_add_u32_e32 v24, -4, v24
	s_mov_b64 s[44:45], 0
	s_waitcnt lgkmcnt(0)
	s_barrier
	s_branch .LBB44_2
.LBB44_18:
	s_mov_b64 s[24:25], -1
                                        ; implicit-def: $vgpr1
	s_branch .LBB44_20
.LBB44_19:
	s_barrier
	ds_write_b32 v3, v25
	s_waitcnt lgkmcnt(0)
	s_barrier
	ds_read_b32 v1, v17
	v_add_u32_e32 v2, v3, v3
	s_mov_b64 s[24:25], 0
	s_waitcnt lgkmcnt(0)
	s_barrier
	ds_write_b64 v2, v[9:10]
	s_waitcnt lgkmcnt(0)
	s_barrier
.LBB44_20:
	v_add_co_u32_e32 v9, vcc, s38, v20
	v_addc_co_u32_e32 v10, vcc, 0, v22, vcc
	v_add_co_u32_e32 v11, vcc, s40, v11
	v_addc_co_u32_e32 v12, vcc, 0, v12, vcc
	s_and_b64 vcc, exec, s[24:25]
	s_cbranch_vccz .LBB44_126
; %bb.21:
	s_movk_i32 s24, 0x3cc
	v_mov_b32_e32 v2, 0
	v_sub_u32_e32 v1, v15, v20
	v_cmp_gt_u32_e32 vcc, s24, v0
	ds_write2_b32 v1, v2, v2 offset1:162
	s_and_saveexec_b64 s[26:27], vcc
	s_cbranch_execz .LBB44_28
; %bb.22:
	v_sub_u32_e32 v1, 0, v20
	s_movk_i32 s24, 0x32a
	v_add_u32_e32 v1, v15, v1
	v_cmp_gt_u32_e64 s[24:25], s24, v0
	ds_write_b32 v1, v2 offset:1296
	s_and_b64 exec, exec, s[24:25]
	s_cbranch_execz .LBB44_28
; %bb.23:
	s_movk_i32 s24, 0x288
	v_mov_b32_e32 v2, 0
	v_cmp_gt_u32_e64 s[24:25], s24, v0
	ds_write_b32 v1, v2 offset:1944
	s_and_b64 exec, exec, s[24:25]
	s_cbranch_execz .LBB44_28
; %bb.24:
	s_movk_i32 s24, 0x1e6
	v_cmp_gt_u32_e64 s[24:25], s24, v0
	ds_write_b32 v1, v2 offset:2592
	s_and_b64 exec, exec, s[24:25]
	s_cbranch_execz .LBB44_28
; %bb.25:
	s_movk_i32 s24, 0x144
	v_mov_b32_e32 v2, 0
	v_cmp_gt_u32_e64 s[24:25], s24, v0
	ds_write_b32 v1, v2 offset:3240
	s_and_b64 exec, exec, s[24:25]
	s_cbranch_execz .LBB44_28
; %bb.26:
	s_movk_i32 s24, 0xa2
	v_cmp_gt_u32_e64 s[24:25], s24, v0
	ds_write_b32 v1, v2 offset:3888
	s_and_b64 exec, exec, s[24:25]
; %bb.27:
	v_mov_b32_e32 v2, 0
	ds_write_b32 v1, v2 offset:4536
.LBB44_28:
	s_or_b64 exec, exec, s[26:27]
	s_waitcnt vmcnt(1)
	v_and_b32_e32 v1, 7, v21
	s_movk_i32 s24, 0xa2
	v_lshrrev_b32_e32 v2, 2, v21
	v_mad_u32_u24 v1, v1, s24, v0
	v_and_b32_e32 v2, 2, v2
	v_lshl_or_b32 v22, v1, 2, v2
	ds_read_u16 v23, v22
	s_waitcnt lgkmcnt(0)
	v_add_u16_e32 v1, 1, v23
	ds_write_b16 v22, v1
	s_waitcnt vmcnt(0) lgkmcnt(0)
	s_barrier
	ds_read2_b64 v[5:8], v16 offset1:1
	ds_read2_b64 v[1:4], v16 offset0:2 offset1:3
	s_waitcnt lgkmcnt(1)
	v_add_u32_e32 v24, v6, v5
	v_add3_u32 v24, v24, v7, v8
	s_waitcnt lgkmcnt(0)
	v_add3_u32 v24, v24, v1, v2
	v_add3_u32 v4, v24, v3, v4
	s_nop 1
	v_mov_b32_dpp v24, v4 row_shr:1 row_mask:0xf bank_mask:0xf
	v_cndmask_b32_e64 v24, v24, 0, s[22:23]
	v_add_u32_e32 v4, v24, v4
	s_nop 1
	v_mov_b32_dpp v24, v4 row_shr:2 row_mask:0xf bank_mask:0xf
	v_cndmask_b32_e64 v24, 0, v24, s[20:21]
	v_add_u32_e32 v4, v4, v24
	;; [unrolled: 4-line block ×4, first 2 shown]
	s_nop 1
	v_mov_b32_dpp v24, v4 row_bcast:15 row_mask:0xf bank_mask:0xf
	v_cndmask_b32_e64 v24, v24, 0, s[14:15]
	v_add_u32_e32 v4, v4, v24
	s_nop 1
	v_mov_b32_dpp v24, v4 row_bcast:31 row_mask:0xf bank_mask:0xf
	v_cndmask_b32_e64 v24, 0, v24, s[10:11]
	v_add_u32_e32 v24, v4, v24
	s_and_saveexec_b64 s[24:25], s[12:13]
; %bb.29:
	ds_write_b32 v19, v24 offset:5184
; %bb.30:
	s_or_b64 exec, exec, s[24:25]
	s_waitcnt lgkmcnt(0)
	s_barrier
	s_and_saveexec_b64 s[24:25], s[4:5]
	s_cbranch_execz .LBB44_32
; %bb.31:
	ds_read_b32 v4, v17 offset:5184
	s_waitcnt lgkmcnt(0)
	s_nop 0
	v_mov_b32_dpp v25, v4 row_shr:1 row_mask:0xf bank_mask:0xf
	v_cndmask_b32_e64 v25, v25, 0, s[8:9]
	v_add_u32_e32 v4, v25, v4
	s_nop 1
	v_mov_b32_dpp v25, v4 row_shr:2 row_mask:0xf bank_mask:0xf
	v_cndmask_b32_e64 v25, 0, v25, s[6:7]
	v_add_u32_e32 v4, v4, v25
	ds_write_b32 v17, v4 offset:5184
.LBB44_32:
	s_or_b64 exec, exec, s[24:25]
	v_mov_b32_e32 v4, 0
	v_mov_b32_e32 v25, 0
	s_waitcnt lgkmcnt(0)
	s_barrier
	s_and_saveexec_b64 s[24:25], s[2:3]
; %bb.33:
	ds_read_b32 v25, v19 offset:5180
; %bb.34:
	s_or_b64 exec, exec, s[24:25]
	s_waitcnt lgkmcnt(0)
	v_add_u32_e32 v24, v25, v24
	ds_bpermute_b32 v24, v18, v24
	ds_read_b32 v26, v4 offset:5192
	s_waitcnt lgkmcnt(1)
	v_cndmask_b32_e64 v24, v24, v25, s[0:1]
	s_waitcnt lgkmcnt(0)
	v_lshl_add_u32 v24, v26, 16, v24
	v_add_u32_e32 v25, v24, v5
	v_add_u32_e32 v5, v25, v6
	;; [unrolled: 1-line block ×7, first 2 shown]
	ds_write2_b64 v16, v[24:25], v[5:6] offset1:1
	ds_write2_b64 v16, v[7:8], v[1:2] offset0:2 offset1:3
	s_waitcnt lgkmcnt(0)
	s_barrier
	ds_read_u16 v1, v22
	v_and_b32_e32 v2, 0xffff, v23
	s_waitcnt lgkmcnt(0)
	s_barrier
	v_add_lshl_u32 v1, v1, v2, 2
	ds_write_b32 v1, v21
	v_add_u32_e32 v1, v1, v1
	s_waitcnt lgkmcnt(0)
	s_barrier
	ds_read_b32 v21, v17
	s_waitcnt lgkmcnt(0)
	s_barrier
	ds_write_b64 v1, v[13:14]
	s_waitcnt lgkmcnt(0)
	s_barrier
	ds_read_b64 v[13:14], v15
	s_waitcnt lgkmcnt(0)
	s_barrier
	ds_write2_b32 v20, v4, v4 offset1:162
	s_and_saveexec_b64 s[26:27], vcc
	s_cbranch_execz .LBB44_41
; %bb.35:
	s_movk_i32 s24, 0x32a
	v_mov_b32_e32 v1, 0
	v_cmp_gt_u32_e64 s[24:25], s24, v0
	ds_write_b32 v20, v1 offset:1296
	s_and_b64 exec, exec, s[24:25]
	s_cbranch_execz .LBB44_41
; %bb.36:
	s_movk_i32 s24, 0x288
	v_cmp_gt_u32_e64 s[24:25], s24, v0
	ds_write_b32 v20, v1 offset:1944
	s_and_b64 exec, exec, s[24:25]
	s_cbranch_execz .LBB44_41
; %bb.37:
	s_movk_i32 s24, 0x1e6
	v_mov_b32_e32 v1, 0
	v_cmp_gt_u32_e64 s[24:25], s24, v0
	ds_write_b32 v20, v1 offset:2592
	s_and_b64 exec, exec, s[24:25]
	s_cbranch_execz .LBB44_41
; %bb.38:
	s_movk_i32 s24, 0x144
	v_cmp_gt_u32_e64 s[24:25], s24, v0
	ds_write_b32 v20, v1 offset:3240
	s_and_b64 exec, exec, s[24:25]
	s_cbranch_execz .LBB44_41
; %bb.39:
	s_movk_i32 s24, 0xa2
	v_mov_b32_e32 v1, 0
	v_cmp_gt_u32_e64 s[24:25], s24, v0
	ds_write_b32 v20, v1 offset:3888
	s_and_b64 exec, exec, s[24:25]
; %bb.40:
	ds_write_b32 v20, v1 offset:4536
.LBB44_41:
	s_or_b64 exec, exec, s[26:27]
	v_bfe_u32 v1, v21, 4, 3
	s_movk_i32 s24, 0xa2
	v_lshrrev_b32_e32 v2, 6, v21
	v_mad_u32_u24 v1, v1, s24, v0
	v_and_b32_e32 v2, 2, v2
	v_lshl_or_b32 v22, v1, 2, v2
	ds_read_u16 v23, v22
	s_waitcnt lgkmcnt(0)
	v_add_u16_e32 v1, 1, v23
	ds_write_b16 v22, v1
	s_waitcnt lgkmcnt(0)
	s_barrier
	ds_read2_b64 v[5:8], v16 offset1:1
	ds_read2_b64 v[1:4], v16 offset0:2 offset1:3
	s_waitcnt lgkmcnt(1)
	v_add_u32_e32 v24, v6, v5
	v_add3_u32 v24, v24, v7, v8
	s_waitcnt lgkmcnt(0)
	v_add3_u32 v24, v24, v1, v2
	v_add3_u32 v4, v24, v3, v4
	s_nop 1
	v_mov_b32_dpp v24, v4 row_shr:1 row_mask:0xf bank_mask:0xf
	v_cndmask_b32_e64 v24, v24, 0, s[22:23]
	v_add_u32_e32 v4, v24, v4
	s_nop 1
	v_mov_b32_dpp v24, v4 row_shr:2 row_mask:0xf bank_mask:0xf
	v_cndmask_b32_e64 v24, 0, v24, s[20:21]
	v_add_u32_e32 v4, v4, v24
	;; [unrolled: 4-line block ×4, first 2 shown]
	s_nop 1
	v_mov_b32_dpp v24, v4 row_bcast:15 row_mask:0xf bank_mask:0xf
	v_cndmask_b32_e64 v24, v24, 0, s[14:15]
	v_add_u32_e32 v4, v4, v24
	s_nop 1
	v_mov_b32_dpp v24, v4 row_bcast:31 row_mask:0xf bank_mask:0xf
	v_cndmask_b32_e64 v24, 0, v24, s[10:11]
	v_add_u32_e32 v24, v4, v24
	s_and_saveexec_b64 s[24:25], s[12:13]
; %bb.42:
	ds_write_b32 v19, v24 offset:5184
; %bb.43:
	s_or_b64 exec, exec, s[24:25]
	s_waitcnt lgkmcnt(0)
	s_barrier
	s_and_saveexec_b64 s[24:25], s[4:5]
	s_cbranch_execz .LBB44_45
; %bb.44:
	ds_read_b32 v4, v17 offset:5184
	s_waitcnt lgkmcnt(0)
	s_nop 0
	v_mov_b32_dpp v25, v4 row_shr:1 row_mask:0xf bank_mask:0xf
	v_cndmask_b32_e64 v25, v25, 0, s[8:9]
	v_add_u32_e32 v4, v25, v4
	s_nop 1
	v_mov_b32_dpp v25, v4 row_shr:2 row_mask:0xf bank_mask:0xf
	v_cndmask_b32_e64 v25, 0, v25, s[6:7]
	v_add_u32_e32 v4, v4, v25
	ds_write_b32 v17, v4 offset:5184
.LBB44_45:
	s_or_b64 exec, exec, s[24:25]
	v_mov_b32_e32 v4, 0
	v_mov_b32_e32 v25, 0
	s_waitcnt lgkmcnt(0)
	s_barrier
	s_and_saveexec_b64 s[24:25], s[2:3]
; %bb.46:
	ds_read_b32 v25, v19 offset:5180
; %bb.47:
	s_or_b64 exec, exec, s[24:25]
	s_waitcnt lgkmcnt(0)
	v_add_u32_e32 v24, v25, v24
	ds_bpermute_b32 v24, v18, v24
	ds_read_b32 v26, v4 offset:5192
	s_waitcnt lgkmcnt(1)
	v_cndmask_b32_e64 v24, v24, v25, s[0:1]
	s_waitcnt lgkmcnt(0)
	v_lshl_add_u32 v24, v26, 16, v24
	v_add_u32_e32 v25, v24, v5
	v_add_u32_e32 v5, v25, v6
	;; [unrolled: 1-line block ×7, first 2 shown]
	ds_write2_b64 v16, v[24:25], v[5:6] offset1:1
	ds_write2_b64 v16, v[7:8], v[1:2] offset0:2 offset1:3
	s_waitcnt lgkmcnt(0)
	s_barrier
	ds_read_u16 v1, v22
	v_and_b32_e32 v2, 0xffff, v23
	s_waitcnt lgkmcnt(0)
	s_barrier
	v_add_lshl_u32 v1, v1, v2, 2
	ds_write_b32 v1, v21
	v_add_u32_e32 v1, v1, v1
	s_waitcnt lgkmcnt(0)
	s_barrier
	ds_read_b32 v21, v17
	s_waitcnt lgkmcnt(0)
	s_barrier
	ds_write_b64 v1, v[13:14]
	s_waitcnt lgkmcnt(0)
	s_barrier
	ds_read_b64 v[13:14], v15
	s_waitcnt lgkmcnt(0)
	s_barrier
	ds_write2_b32 v20, v4, v4 offset1:162
	s_and_saveexec_b64 s[26:27], vcc
	s_cbranch_execz .LBB44_54
; %bb.48:
	s_movk_i32 s24, 0x32a
	v_mov_b32_e32 v1, 0
	v_cmp_gt_u32_e64 s[24:25], s24, v0
	ds_write_b32 v20, v1 offset:1296
	s_and_b64 exec, exec, s[24:25]
	s_cbranch_execz .LBB44_54
; %bb.49:
	s_movk_i32 s24, 0x288
	v_cmp_gt_u32_e64 s[24:25], s24, v0
	ds_write_b32 v20, v1 offset:1944
	s_and_b64 exec, exec, s[24:25]
	s_cbranch_execz .LBB44_54
; %bb.50:
	s_movk_i32 s24, 0x1e6
	v_mov_b32_e32 v1, 0
	v_cmp_gt_u32_e64 s[24:25], s24, v0
	ds_write_b32 v20, v1 offset:2592
	s_and_b64 exec, exec, s[24:25]
	s_cbranch_execz .LBB44_54
; %bb.51:
	s_movk_i32 s24, 0x144
	v_cmp_gt_u32_e64 s[24:25], s24, v0
	ds_write_b32 v20, v1 offset:3240
	s_and_b64 exec, exec, s[24:25]
	s_cbranch_execz .LBB44_54
; %bb.52:
	s_movk_i32 s24, 0xa2
	v_mov_b32_e32 v1, 0
	v_cmp_gt_u32_e64 s[24:25], s24, v0
	ds_write_b32 v20, v1 offset:3888
	s_and_b64 exec, exec, s[24:25]
; %bb.53:
	ds_write_b32 v20, v1 offset:4536
.LBB44_54:
	s_or_b64 exec, exec, s[26:27]
	v_bfe_u32 v1, v21, 8, 3
	s_movk_i32 s24, 0xa2
	v_lshrrev_b32_e32 v2, 10, v21
	v_mad_u32_u24 v1, v1, s24, v0
	v_and_b32_e32 v2, 2, v2
	v_lshl_or_b32 v22, v1, 2, v2
	ds_read_u16 v23, v22
	s_waitcnt lgkmcnt(0)
	v_add_u16_e32 v1, 1, v23
	ds_write_b16 v22, v1
	s_waitcnt lgkmcnt(0)
	s_barrier
	ds_read2_b64 v[5:8], v16 offset1:1
	ds_read2_b64 v[1:4], v16 offset0:2 offset1:3
	s_waitcnt lgkmcnt(1)
	v_add_u32_e32 v24, v6, v5
	v_add3_u32 v24, v24, v7, v8
	s_waitcnt lgkmcnt(0)
	v_add3_u32 v24, v24, v1, v2
	v_add3_u32 v4, v24, v3, v4
	s_nop 1
	v_mov_b32_dpp v24, v4 row_shr:1 row_mask:0xf bank_mask:0xf
	v_cndmask_b32_e64 v24, v24, 0, s[22:23]
	v_add_u32_e32 v4, v24, v4
	s_nop 1
	v_mov_b32_dpp v24, v4 row_shr:2 row_mask:0xf bank_mask:0xf
	v_cndmask_b32_e64 v24, 0, v24, s[20:21]
	v_add_u32_e32 v4, v4, v24
	s_nop 1
	v_mov_b32_dpp v24, v4 row_shr:4 row_mask:0xf bank_mask:0xf
	v_cndmask_b32_e64 v24, 0, v24, s[18:19]
	v_add_u32_e32 v4, v4, v24
	s_nop 1
	v_mov_b32_dpp v24, v4 row_shr:8 row_mask:0xf bank_mask:0xf
	v_cndmask_b32_e64 v24, 0, v24, s[16:17]
	v_add_u32_e32 v4, v4, v24
	s_nop 1
	v_mov_b32_dpp v24, v4 row_bcast:15 row_mask:0xf bank_mask:0xf
	v_cndmask_b32_e64 v24, v24, 0, s[14:15]
	v_add_u32_e32 v4, v4, v24
	s_nop 1
	v_mov_b32_dpp v24, v4 row_bcast:31 row_mask:0xf bank_mask:0xf
	v_cndmask_b32_e64 v24, 0, v24, s[10:11]
	v_add_u32_e32 v24, v4, v24
	s_and_saveexec_b64 s[24:25], s[12:13]
; %bb.55:
	ds_write_b32 v19, v24 offset:5184
; %bb.56:
	s_or_b64 exec, exec, s[24:25]
	s_waitcnt lgkmcnt(0)
	s_barrier
	s_and_saveexec_b64 s[24:25], s[4:5]
	s_cbranch_execz .LBB44_58
; %bb.57:
	ds_read_b32 v4, v17 offset:5184
	s_waitcnt lgkmcnt(0)
	s_nop 0
	v_mov_b32_dpp v25, v4 row_shr:1 row_mask:0xf bank_mask:0xf
	v_cndmask_b32_e64 v25, v25, 0, s[8:9]
	v_add_u32_e32 v4, v25, v4
	s_nop 1
	v_mov_b32_dpp v25, v4 row_shr:2 row_mask:0xf bank_mask:0xf
	v_cndmask_b32_e64 v25, 0, v25, s[6:7]
	v_add_u32_e32 v4, v4, v25
	ds_write_b32 v17, v4 offset:5184
.LBB44_58:
	s_or_b64 exec, exec, s[24:25]
	v_mov_b32_e32 v4, 0
	v_mov_b32_e32 v25, 0
	s_waitcnt lgkmcnt(0)
	s_barrier
	s_and_saveexec_b64 s[24:25], s[2:3]
; %bb.59:
	ds_read_b32 v25, v19 offset:5180
; %bb.60:
	s_or_b64 exec, exec, s[24:25]
	s_waitcnt lgkmcnt(0)
	v_add_u32_e32 v24, v25, v24
	ds_bpermute_b32 v24, v18, v24
	ds_read_b32 v26, v4 offset:5192
	s_waitcnt lgkmcnt(1)
	v_cndmask_b32_e64 v24, v24, v25, s[0:1]
	s_waitcnt lgkmcnt(0)
	v_lshl_add_u32 v24, v26, 16, v24
	v_add_u32_e32 v25, v24, v5
	v_add_u32_e32 v5, v25, v6
	;; [unrolled: 1-line block ×7, first 2 shown]
	ds_write2_b64 v16, v[24:25], v[5:6] offset1:1
	ds_write2_b64 v16, v[7:8], v[1:2] offset0:2 offset1:3
	s_waitcnt lgkmcnt(0)
	s_barrier
	ds_read_u16 v1, v22
	v_and_b32_e32 v2, 0xffff, v23
	s_waitcnt lgkmcnt(0)
	s_barrier
	v_add_lshl_u32 v1, v1, v2, 2
	ds_write_b32 v1, v21
	v_add_u32_e32 v1, v1, v1
	s_waitcnt lgkmcnt(0)
	s_barrier
	ds_read_b32 v21, v17
	s_waitcnt lgkmcnt(0)
	s_barrier
	ds_write_b64 v1, v[13:14]
	s_waitcnt lgkmcnt(0)
	s_barrier
	ds_read_b64 v[13:14], v15
	s_waitcnt lgkmcnt(0)
	s_barrier
	ds_write2_b32 v20, v4, v4 offset1:162
	s_and_saveexec_b64 s[26:27], vcc
	s_cbranch_execz .LBB44_67
; %bb.61:
	s_movk_i32 s24, 0x32a
	v_mov_b32_e32 v1, 0
	v_cmp_gt_u32_e64 s[24:25], s24, v0
	ds_write_b32 v20, v1 offset:1296
	s_and_b64 exec, exec, s[24:25]
	s_cbranch_execz .LBB44_67
; %bb.62:
	s_movk_i32 s24, 0x288
	v_cmp_gt_u32_e64 s[24:25], s24, v0
	ds_write_b32 v20, v1 offset:1944
	s_and_b64 exec, exec, s[24:25]
	s_cbranch_execz .LBB44_67
; %bb.63:
	s_movk_i32 s24, 0x1e6
	v_mov_b32_e32 v1, 0
	v_cmp_gt_u32_e64 s[24:25], s24, v0
	ds_write_b32 v20, v1 offset:2592
	s_and_b64 exec, exec, s[24:25]
	s_cbranch_execz .LBB44_67
; %bb.64:
	s_movk_i32 s24, 0x144
	v_cmp_gt_u32_e64 s[24:25], s24, v0
	ds_write_b32 v20, v1 offset:3240
	s_and_b64 exec, exec, s[24:25]
	s_cbranch_execz .LBB44_67
; %bb.65:
	s_movk_i32 s24, 0xa2
	v_mov_b32_e32 v1, 0
	v_cmp_gt_u32_e64 s[24:25], s24, v0
	ds_write_b32 v20, v1 offset:3888
	s_and_b64 exec, exec, s[24:25]
; %bb.66:
	ds_write_b32 v20, v1 offset:4536
.LBB44_67:
	s_or_b64 exec, exec, s[26:27]
	v_bfe_u32 v1, v21, 12, 3
	s_movk_i32 s24, 0xa2
	v_lshrrev_b32_e32 v2, 14, v21
	v_mad_u32_u24 v1, v1, s24, v0
	v_and_b32_e32 v2, 2, v2
	v_lshl_or_b32 v22, v1, 2, v2
	ds_read_u16 v23, v22
	s_waitcnt lgkmcnt(0)
	v_add_u16_e32 v1, 1, v23
	ds_write_b16 v22, v1
	s_waitcnt lgkmcnt(0)
	s_barrier
	ds_read2_b64 v[5:8], v16 offset1:1
	ds_read2_b64 v[1:4], v16 offset0:2 offset1:3
	s_waitcnt lgkmcnt(1)
	v_add_u32_e32 v24, v6, v5
	v_add3_u32 v24, v24, v7, v8
	s_waitcnt lgkmcnt(0)
	v_add3_u32 v24, v24, v1, v2
	v_add3_u32 v4, v24, v3, v4
	s_nop 1
	v_mov_b32_dpp v24, v4 row_shr:1 row_mask:0xf bank_mask:0xf
	v_cndmask_b32_e64 v24, v24, 0, s[22:23]
	v_add_u32_e32 v4, v24, v4
	s_nop 1
	v_mov_b32_dpp v24, v4 row_shr:2 row_mask:0xf bank_mask:0xf
	v_cndmask_b32_e64 v24, 0, v24, s[20:21]
	v_add_u32_e32 v4, v4, v24
	;; [unrolled: 4-line block ×4, first 2 shown]
	s_nop 1
	v_mov_b32_dpp v24, v4 row_bcast:15 row_mask:0xf bank_mask:0xf
	v_cndmask_b32_e64 v24, v24, 0, s[14:15]
	v_add_u32_e32 v4, v4, v24
	s_nop 1
	v_mov_b32_dpp v24, v4 row_bcast:31 row_mask:0xf bank_mask:0xf
	v_cndmask_b32_e64 v24, 0, v24, s[10:11]
	v_add_u32_e32 v24, v4, v24
	s_and_saveexec_b64 s[24:25], s[12:13]
; %bb.68:
	ds_write_b32 v19, v24 offset:5184
; %bb.69:
	s_or_b64 exec, exec, s[24:25]
	s_waitcnt lgkmcnt(0)
	s_barrier
	s_and_saveexec_b64 s[24:25], s[4:5]
	s_cbranch_execz .LBB44_71
; %bb.70:
	ds_read_b32 v4, v17 offset:5184
	s_waitcnt lgkmcnt(0)
	s_nop 0
	v_mov_b32_dpp v25, v4 row_shr:1 row_mask:0xf bank_mask:0xf
	v_cndmask_b32_e64 v25, v25, 0, s[8:9]
	v_add_u32_e32 v4, v25, v4
	s_nop 1
	v_mov_b32_dpp v25, v4 row_shr:2 row_mask:0xf bank_mask:0xf
	v_cndmask_b32_e64 v25, 0, v25, s[6:7]
	v_add_u32_e32 v4, v4, v25
	ds_write_b32 v17, v4 offset:5184
.LBB44_71:
	s_or_b64 exec, exec, s[24:25]
	v_mov_b32_e32 v4, 0
	v_mov_b32_e32 v25, 0
	s_waitcnt lgkmcnt(0)
	s_barrier
	s_and_saveexec_b64 s[24:25], s[2:3]
; %bb.72:
	ds_read_b32 v25, v19 offset:5180
; %bb.73:
	s_or_b64 exec, exec, s[24:25]
	s_waitcnt lgkmcnt(0)
	v_add_u32_e32 v24, v25, v24
	ds_bpermute_b32 v24, v18, v24
	ds_read_b32 v26, v4 offset:5192
	s_waitcnt lgkmcnt(1)
	v_cndmask_b32_e64 v24, v24, v25, s[0:1]
	s_waitcnt lgkmcnt(0)
	v_lshl_add_u32 v24, v26, 16, v24
	v_add_u32_e32 v25, v24, v5
	v_add_u32_e32 v5, v25, v6
	;; [unrolled: 1-line block ×7, first 2 shown]
	ds_write2_b64 v16, v[24:25], v[5:6] offset1:1
	ds_write2_b64 v16, v[7:8], v[1:2] offset0:2 offset1:3
	s_waitcnt lgkmcnt(0)
	s_barrier
	ds_read_u16 v1, v22
	v_and_b32_e32 v2, 0xffff, v23
	s_waitcnt lgkmcnt(0)
	s_barrier
	v_add_lshl_u32 v1, v1, v2, 2
	ds_write_b32 v1, v21
	v_add_u32_e32 v1, v1, v1
	s_waitcnt lgkmcnt(0)
	s_barrier
	ds_read_b32 v21, v17
	s_waitcnt lgkmcnt(0)
	s_barrier
	ds_write_b64 v1, v[13:14]
	s_waitcnt lgkmcnt(0)
	s_barrier
	ds_read_b64 v[13:14], v15
	s_waitcnt lgkmcnt(0)
	s_barrier
	ds_write2_b32 v20, v4, v4 offset1:162
	s_and_saveexec_b64 s[26:27], vcc
	s_cbranch_execz .LBB44_80
; %bb.74:
	s_movk_i32 s24, 0x32a
	v_mov_b32_e32 v1, 0
	v_cmp_gt_u32_e64 s[24:25], s24, v0
	ds_write_b32 v20, v1 offset:1296
	s_and_b64 exec, exec, s[24:25]
	s_cbranch_execz .LBB44_80
; %bb.75:
	s_movk_i32 s24, 0x288
	v_cmp_gt_u32_e64 s[24:25], s24, v0
	ds_write_b32 v20, v1 offset:1944
	s_and_b64 exec, exec, s[24:25]
	s_cbranch_execz .LBB44_80
; %bb.76:
	s_movk_i32 s24, 0x1e6
	v_mov_b32_e32 v1, 0
	v_cmp_gt_u32_e64 s[24:25], s24, v0
	ds_write_b32 v20, v1 offset:2592
	s_and_b64 exec, exec, s[24:25]
	s_cbranch_execz .LBB44_80
; %bb.77:
	s_movk_i32 s24, 0x144
	v_cmp_gt_u32_e64 s[24:25], s24, v0
	ds_write_b32 v20, v1 offset:3240
	s_and_b64 exec, exec, s[24:25]
	s_cbranch_execz .LBB44_80
; %bb.78:
	s_movk_i32 s24, 0xa2
	v_mov_b32_e32 v1, 0
	v_cmp_gt_u32_e64 s[24:25], s24, v0
	ds_write_b32 v20, v1 offset:3888
	s_and_b64 exec, exec, s[24:25]
; %bb.79:
	ds_write_b32 v20, v1 offset:4536
.LBB44_80:
	s_or_b64 exec, exec, s[26:27]
	v_bfe_u32 v1, v21, 16, 3
	s_movk_i32 s24, 0xa2
	v_lshrrev_b32_e32 v2, 18, v21
	v_mad_u32_u24 v1, v1, s24, v0
	v_and_b32_e32 v2, 2, v2
	v_lshl_or_b32 v22, v1, 2, v2
	ds_read_u16 v23, v22
	s_waitcnt lgkmcnt(0)
	v_add_u16_e32 v1, 1, v23
	ds_write_b16 v22, v1
	s_waitcnt lgkmcnt(0)
	s_barrier
	ds_read2_b64 v[5:8], v16 offset1:1
	ds_read2_b64 v[1:4], v16 offset0:2 offset1:3
	s_waitcnt lgkmcnt(1)
	v_add_u32_e32 v24, v6, v5
	v_add3_u32 v24, v24, v7, v8
	s_waitcnt lgkmcnt(0)
	v_add3_u32 v24, v24, v1, v2
	v_add3_u32 v4, v24, v3, v4
	s_nop 1
	v_mov_b32_dpp v24, v4 row_shr:1 row_mask:0xf bank_mask:0xf
	v_cndmask_b32_e64 v24, v24, 0, s[22:23]
	v_add_u32_e32 v4, v24, v4
	s_nop 1
	v_mov_b32_dpp v24, v4 row_shr:2 row_mask:0xf bank_mask:0xf
	v_cndmask_b32_e64 v24, 0, v24, s[20:21]
	v_add_u32_e32 v4, v4, v24
	;; [unrolled: 4-line block ×4, first 2 shown]
	s_nop 1
	v_mov_b32_dpp v24, v4 row_bcast:15 row_mask:0xf bank_mask:0xf
	v_cndmask_b32_e64 v24, v24, 0, s[14:15]
	v_add_u32_e32 v4, v4, v24
	s_nop 1
	v_mov_b32_dpp v24, v4 row_bcast:31 row_mask:0xf bank_mask:0xf
	v_cndmask_b32_e64 v24, 0, v24, s[10:11]
	v_add_u32_e32 v24, v4, v24
	s_and_saveexec_b64 s[24:25], s[12:13]
; %bb.81:
	ds_write_b32 v19, v24 offset:5184
; %bb.82:
	s_or_b64 exec, exec, s[24:25]
	s_waitcnt lgkmcnt(0)
	s_barrier
	s_and_saveexec_b64 s[24:25], s[4:5]
	s_cbranch_execz .LBB44_84
; %bb.83:
	ds_read_b32 v4, v17 offset:5184
	s_waitcnt lgkmcnt(0)
	s_nop 0
	v_mov_b32_dpp v25, v4 row_shr:1 row_mask:0xf bank_mask:0xf
	v_cndmask_b32_e64 v25, v25, 0, s[8:9]
	v_add_u32_e32 v4, v25, v4
	s_nop 1
	v_mov_b32_dpp v25, v4 row_shr:2 row_mask:0xf bank_mask:0xf
	v_cndmask_b32_e64 v25, 0, v25, s[6:7]
	v_add_u32_e32 v4, v4, v25
	ds_write_b32 v17, v4 offset:5184
.LBB44_84:
	s_or_b64 exec, exec, s[24:25]
	v_mov_b32_e32 v4, 0
	v_mov_b32_e32 v25, 0
	s_waitcnt lgkmcnt(0)
	s_barrier
	s_and_saveexec_b64 s[24:25], s[2:3]
; %bb.85:
	ds_read_b32 v25, v19 offset:5180
; %bb.86:
	s_or_b64 exec, exec, s[24:25]
	s_waitcnt lgkmcnt(0)
	v_add_u32_e32 v24, v25, v24
	ds_bpermute_b32 v24, v18, v24
	ds_read_b32 v26, v4 offset:5192
	s_waitcnt lgkmcnt(1)
	v_cndmask_b32_e64 v24, v24, v25, s[0:1]
	s_waitcnt lgkmcnt(0)
	v_lshl_add_u32 v24, v26, 16, v24
	v_add_u32_e32 v25, v24, v5
	v_add_u32_e32 v5, v25, v6
	;; [unrolled: 1-line block ×7, first 2 shown]
	ds_write2_b64 v16, v[24:25], v[5:6] offset1:1
	ds_write2_b64 v16, v[7:8], v[1:2] offset0:2 offset1:3
	s_waitcnt lgkmcnt(0)
	s_barrier
	ds_read_u16 v1, v22
	v_and_b32_e32 v2, 0xffff, v23
	s_waitcnt lgkmcnt(0)
	s_barrier
	v_add_lshl_u32 v1, v1, v2, 2
	ds_write_b32 v1, v21
	v_add_u32_e32 v1, v1, v1
	s_waitcnt lgkmcnt(0)
	s_barrier
	ds_read_b32 v21, v17
	s_waitcnt lgkmcnt(0)
	s_barrier
	ds_write_b64 v1, v[13:14]
	s_waitcnt lgkmcnt(0)
	s_barrier
	ds_read_b64 v[13:14], v15
	s_waitcnt lgkmcnt(0)
	s_barrier
	ds_write2_b32 v20, v4, v4 offset1:162
	s_and_saveexec_b64 s[26:27], vcc
	s_cbranch_execz .LBB44_93
; %bb.87:
	s_movk_i32 s24, 0x32a
	v_mov_b32_e32 v1, 0
	v_cmp_gt_u32_e64 s[24:25], s24, v0
	ds_write_b32 v20, v1 offset:1296
	s_and_b64 exec, exec, s[24:25]
	s_cbranch_execz .LBB44_93
; %bb.88:
	s_movk_i32 s24, 0x288
	v_cmp_gt_u32_e64 s[24:25], s24, v0
	ds_write_b32 v20, v1 offset:1944
	s_and_b64 exec, exec, s[24:25]
	s_cbranch_execz .LBB44_93
; %bb.89:
	s_movk_i32 s24, 0x1e6
	v_mov_b32_e32 v1, 0
	v_cmp_gt_u32_e64 s[24:25], s24, v0
	ds_write_b32 v20, v1 offset:2592
	s_and_b64 exec, exec, s[24:25]
	s_cbranch_execz .LBB44_93
; %bb.90:
	s_movk_i32 s24, 0x144
	v_cmp_gt_u32_e64 s[24:25], s24, v0
	ds_write_b32 v20, v1 offset:3240
	s_and_b64 exec, exec, s[24:25]
	s_cbranch_execz .LBB44_93
; %bb.91:
	s_movk_i32 s24, 0xa2
	v_mov_b32_e32 v1, 0
	v_cmp_gt_u32_e64 s[24:25], s24, v0
	ds_write_b32 v20, v1 offset:3888
	s_and_b64 exec, exec, s[24:25]
; %bb.92:
	ds_write_b32 v20, v1 offset:4536
.LBB44_93:
	s_or_b64 exec, exec, s[26:27]
	v_bfe_u32 v1, v21, 20, 3
	s_movk_i32 s24, 0xa2
	v_lshrrev_b32_e32 v2, 22, v21
	v_mad_u32_u24 v1, v1, s24, v0
	v_and_b32_e32 v2, 2, v2
	v_lshl_or_b32 v22, v1, 2, v2
	ds_read_u16 v23, v22
	s_waitcnt lgkmcnt(0)
	v_add_u16_e32 v1, 1, v23
	ds_write_b16 v22, v1
	s_waitcnt lgkmcnt(0)
	s_barrier
	ds_read2_b64 v[5:8], v16 offset1:1
	ds_read2_b64 v[1:4], v16 offset0:2 offset1:3
	s_waitcnt lgkmcnt(1)
	v_add_u32_e32 v24, v6, v5
	v_add3_u32 v24, v24, v7, v8
	s_waitcnt lgkmcnt(0)
	v_add3_u32 v24, v24, v1, v2
	v_add3_u32 v4, v24, v3, v4
	s_nop 1
	v_mov_b32_dpp v24, v4 row_shr:1 row_mask:0xf bank_mask:0xf
	v_cndmask_b32_e64 v24, v24, 0, s[22:23]
	v_add_u32_e32 v4, v24, v4
	s_nop 1
	v_mov_b32_dpp v24, v4 row_shr:2 row_mask:0xf bank_mask:0xf
	v_cndmask_b32_e64 v24, 0, v24, s[20:21]
	v_add_u32_e32 v4, v4, v24
	s_nop 1
	v_mov_b32_dpp v24, v4 row_shr:4 row_mask:0xf bank_mask:0xf
	v_cndmask_b32_e64 v24, 0, v24, s[18:19]
	v_add_u32_e32 v4, v4, v24
	s_nop 1
	v_mov_b32_dpp v24, v4 row_shr:8 row_mask:0xf bank_mask:0xf
	v_cndmask_b32_e64 v24, 0, v24, s[16:17]
	v_add_u32_e32 v4, v4, v24
	s_nop 1
	v_mov_b32_dpp v24, v4 row_bcast:15 row_mask:0xf bank_mask:0xf
	v_cndmask_b32_e64 v24, v24, 0, s[14:15]
	v_add_u32_e32 v4, v4, v24
	s_nop 1
	v_mov_b32_dpp v24, v4 row_bcast:31 row_mask:0xf bank_mask:0xf
	v_cndmask_b32_e64 v24, 0, v24, s[10:11]
	v_add_u32_e32 v24, v4, v24
	s_and_saveexec_b64 s[24:25], s[12:13]
; %bb.94:
	ds_write_b32 v19, v24 offset:5184
; %bb.95:
	s_or_b64 exec, exec, s[24:25]
	s_waitcnt lgkmcnt(0)
	s_barrier
	s_and_saveexec_b64 s[24:25], s[4:5]
	s_cbranch_execz .LBB44_97
; %bb.96:
	ds_read_b32 v4, v17 offset:5184
	s_waitcnt lgkmcnt(0)
	s_nop 0
	v_mov_b32_dpp v25, v4 row_shr:1 row_mask:0xf bank_mask:0xf
	v_cndmask_b32_e64 v25, v25, 0, s[8:9]
	v_add_u32_e32 v4, v25, v4
	s_nop 1
	v_mov_b32_dpp v25, v4 row_shr:2 row_mask:0xf bank_mask:0xf
	v_cndmask_b32_e64 v25, 0, v25, s[6:7]
	v_add_u32_e32 v4, v4, v25
	ds_write_b32 v17, v4 offset:5184
.LBB44_97:
	s_or_b64 exec, exec, s[24:25]
	v_mov_b32_e32 v4, 0
	v_mov_b32_e32 v25, 0
	s_waitcnt lgkmcnt(0)
	s_barrier
	s_and_saveexec_b64 s[24:25], s[2:3]
; %bb.98:
	ds_read_b32 v25, v19 offset:5180
; %bb.99:
	s_or_b64 exec, exec, s[24:25]
	s_waitcnt lgkmcnt(0)
	v_add_u32_e32 v24, v25, v24
	ds_bpermute_b32 v24, v18, v24
	ds_read_b32 v26, v4 offset:5192
	s_waitcnt lgkmcnt(1)
	v_cndmask_b32_e64 v24, v24, v25, s[0:1]
	s_waitcnt lgkmcnt(0)
	v_lshl_add_u32 v24, v26, 16, v24
	v_add_u32_e32 v25, v24, v5
	v_add_u32_e32 v5, v25, v6
	;; [unrolled: 1-line block ×7, first 2 shown]
	ds_write2_b64 v16, v[24:25], v[5:6] offset1:1
	ds_write2_b64 v16, v[7:8], v[1:2] offset0:2 offset1:3
	s_waitcnt lgkmcnt(0)
	s_barrier
	ds_read_u16 v1, v22
	v_and_b32_e32 v2, 0xffff, v23
	s_waitcnt lgkmcnt(0)
	s_barrier
	v_add_lshl_u32 v1, v1, v2, 2
	ds_write_b32 v1, v21
	v_add_u32_e32 v1, v1, v1
	s_waitcnt lgkmcnt(0)
	s_barrier
	ds_read_b32 v21, v17
	s_waitcnt lgkmcnt(0)
	s_barrier
	ds_write_b64 v1, v[13:14]
	s_waitcnt lgkmcnt(0)
	s_barrier
	ds_read_b64 v[13:14], v15
	s_waitcnt lgkmcnt(0)
	s_barrier
	ds_write2_b32 v20, v4, v4 offset1:162
	s_and_saveexec_b64 s[26:27], vcc
	s_cbranch_execz .LBB44_106
; %bb.100:
	s_movk_i32 s24, 0x32a
	v_mov_b32_e32 v1, 0
	v_cmp_gt_u32_e64 s[24:25], s24, v0
	ds_write_b32 v20, v1 offset:1296
	s_and_b64 exec, exec, s[24:25]
	s_cbranch_execz .LBB44_106
; %bb.101:
	s_movk_i32 s24, 0x288
	v_cmp_gt_u32_e64 s[24:25], s24, v0
	ds_write_b32 v20, v1 offset:1944
	s_and_b64 exec, exec, s[24:25]
	s_cbranch_execz .LBB44_106
; %bb.102:
	s_movk_i32 s24, 0x1e6
	v_mov_b32_e32 v1, 0
	v_cmp_gt_u32_e64 s[24:25], s24, v0
	ds_write_b32 v20, v1 offset:2592
	s_and_b64 exec, exec, s[24:25]
	s_cbranch_execz .LBB44_106
; %bb.103:
	s_movk_i32 s24, 0x144
	v_cmp_gt_u32_e64 s[24:25], s24, v0
	ds_write_b32 v20, v1 offset:3240
	s_and_b64 exec, exec, s[24:25]
	s_cbranch_execz .LBB44_106
; %bb.104:
	s_movk_i32 s24, 0xa2
	v_mov_b32_e32 v1, 0
	v_cmp_gt_u32_e64 s[24:25], s24, v0
	ds_write_b32 v20, v1 offset:3888
	s_and_b64 exec, exec, s[24:25]
; %bb.105:
	ds_write_b32 v20, v1 offset:4536
.LBB44_106:
	s_or_b64 exec, exec, s[26:27]
	v_bfe_u32 v1, v21, 24, 3
	s_movk_i32 s24, 0xa2
	v_lshrrev_b32_e32 v2, 26, v21
	v_mad_u32_u24 v1, v1, s24, v0
	v_and_b32_e32 v2, 2, v2
	v_lshl_or_b32 v22, v1, 2, v2
	ds_read_u16 v23, v22
	s_waitcnt lgkmcnt(0)
	v_add_u16_e32 v1, 1, v23
	ds_write_b16 v22, v1
	s_waitcnt lgkmcnt(0)
	s_barrier
	ds_read2_b64 v[5:8], v16 offset1:1
	ds_read2_b64 v[1:4], v16 offset0:2 offset1:3
	s_waitcnt lgkmcnt(1)
	v_add_u32_e32 v24, v6, v5
	v_add3_u32 v24, v24, v7, v8
	s_waitcnt lgkmcnt(0)
	v_add3_u32 v24, v24, v1, v2
	v_add3_u32 v4, v24, v3, v4
	s_nop 1
	v_mov_b32_dpp v24, v4 row_shr:1 row_mask:0xf bank_mask:0xf
	v_cndmask_b32_e64 v24, v24, 0, s[22:23]
	v_add_u32_e32 v4, v24, v4
	s_nop 1
	v_mov_b32_dpp v24, v4 row_shr:2 row_mask:0xf bank_mask:0xf
	v_cndmask_b32_e64 v24, 0, v24, s[20:21]
	v_add_u32_e32 v4, v4, v24
	;; [unrolled: 4-line block ×4, first 2 shown]
	s_nop 1
	v_mov_b32_dpp v24, v4 row_bcast:15 row_mask:0xf bank_mask:0xf
	v_cndmask_b32_e64 v24, v24, 0, s[14:15]
	v_add_u32_e32 v4, v4, v24
	s_nop 1
	v_mov_b32_dpp v24, v4 row_bcast:31 row_mask:0xf bank_mask:0xf
	v_cndmask_b32_e64 v24, 0, v24, s[10:11]
	v_add_u32_e32 v24, v4, v24
	s_and_saveexec_b64 s[24:25], s[12:13]
; %bb.107:
	ds_write_b32 v19, v24 offset:5184
; %bb.108:
	s_or_b64 exec, exec, s[24:25]
	s_waitcnt lgkmcnt(0)
	s_barrier
	s_and_saveexec_b64 s[24:25], s[4:5]
	s_cbranch_execz .LBB44_110
; %bb.109:
	ds_read_b32 v4, v17 offset:5184
	s_waitcnt lgkmcnt(0)
	s_nop 0
	v_mov_b32_dpp v25, v4 row_shr:1 row_mask:0xf bank_mask:0xf
	v_cndmask_b32_e64 v25, v25, 0, s[8:9]
	v_add_u32_e32 v4, v25, v4
	s_nop 1
	v_mov_b32_dpp v25, v4 row_shr:2 row_mask:0xf bank_mask:0xf
	v_cndmask_b32_e64 v25, 0, v25, s[6:7]
	v_add_u32_e32 v4, v4, v25
	ds_write_b32 v17, v4 offset:5184
.LBB44_110:
	s_or_b64 exec, exec, s[24:25]
	v_mov_b32_e32 v4, 0
	v_mov_b32_e32 v25, 0
	s_waitcnt lgkmcnt(0)
	s_barrier
	s_and_saveexec_b64 s[24:25], s[2:3]
; %bb.111:
	ds_read_b32 v25, v19 offset:5180
; %bb.112:
	s_or_b64 exec, exec, s[24:25]
	s_waitcnt lgkmcnt(0)
	v_add_u32_e32 v24, v25, v24
	ds_bpermute_b32 v24, v18, v24
	ds_read_b32 v26, v4 offset:5192
	s_waitcnt lgkmcnt(1)
	v_cndmask_b32_e64 v24, v24, v25, s[0:1]
	s_waitcnt lgkmcnt(0)
	v_lshl_add_u32 v24, v26, 16, v24
	v_add_u32_e32 v25, v24, v5
	v_add_u32_e32 v5, v25, v6
	;; [unrolled: 1-line block ×7, first 2 shown]
	ds_write2_b64 v16, v[24:25], v[5:6] offset1:1
	ds_write2_b64 v16, v[7:8], v[1:2] offset0:2 offset1:3
	s_waitcnt lgkmcnt(0)
	s_barrier
	ds_read_u16 v1, v22
	v_and_b32_e32 v2, 0xffff, v23
	s_waitcnt lgkmcnt(0)
	s_barrier
	v_add_lshl_u32 v1, v1, v2, 2
	ds_write_b32 v1, v21
	v_add_u32_e32 v1, v1, v1
	s_waitcnt lgkmcnt(0)
	s_barrier
	ds_read_b32 v8, v17
	s_waitcnt lgkmcnt(0)
	s_barrier
	ds_write_b64 v1, v[13:14]
	s_waitcnt lgkmcnt(0)
	s_barrier
	ds_read_b64 v[13:14], v15
	s_waitcnt lgkmcnt(0)
	s_barrier
	ds_write2_b32 v20, v4, v4 offset1:162
	s_and_saveexec_b64 s[24:25], vcc
	s_cbranch_execz .LBB44_119
; %bb.113:
	s_movk_i32 s26, 0x32a
	v_mov_b32_e32 v1, 0
	v_cmp_gt_u32_e32 vcc, s26, v0
	ds_write_b32 v20, v1 offset:1296
	s_and_b64 exec, exec, vcc
	s_cbranch_execz .LBB44_119
; %bb.114:
	s_movk_i32 s26, 0x288
	v_cmp_gt_u32_e32 vcc, s26, v0
	ds_write_b32 v20, v1 offset:1944
	s_and_b64 exec, exec, vcc
	s_cbranch_execz .LBB44_119
; %bb.115:
	s_movk_i32 s26, 0x1e6
	v_mov_b32_e32 v1, 0
	v_cmp_gt_u32_e32 vcc, s26, v0
	ds_write_b32 v20, v1 offset:2592
	s_and_b64 exec, exec, vcc
	s_cbranch_execz .LBB44_119
; %bb.116:
	s_movk_i32 s26, 0x144
	v_cmp_gt_u32_e32 vcc, s26, v0
	ds_write_b32 v20, v1 offset:3240
	s_and_b64 exec, exec, vcc
	s_cbranch_execz .LBB44_119
; %bb.117:
	s_movk_i32 s26, 0xa2
	v_mov_b32_e32 v1, 0
	v_cmp_gt_u32_e32 vcc, s26, v0
	ds_write_b32 v20, v1 offset:3888
	s_and_b64 exec, exec, vcc
; %bb.118:
	ds_write_b32 v20, v1 offset:4536
.LBB44_119:
	s_or_b64 exec, exec, s[24:25]
	v_bfe_u32 v1, v8, 28, 3
	s_movk_i32 s24, 0xa2
	v_mad_u32_u24 v0, v1, s24, v0
	v_alignbit_b32 v0, v0, v8, 30
	v_and_b32_e32 v20, 0x3ffe, v0
	ds_read_u16 v21, v20
	s_waitcnt lgkmcnt(0)
	v_add_u16_e32 v0, 1, v21
	ds_write_b16 v20, v0
	s_waitcnt lgkmcnt(0)
	s_barrier
	ds_read2_b64 v[4:7], v16 offset1:1
	ds_read2_b64 v[0:3], v16 offset0:2 offset1:3
	s_waitcnt lgkmcnt(1)
	v_add_u32_e32 v22, v5, v4
	v_add3_u32 v22, v22, v6, v7
	s_waitcnt lgkmcnt(0)
	v_add3_u32 v22, v22, v0, v1
	v_add3_u32 v3, v22, v2, v3
	s_nop 1
	v_mov_b32_dpp v22, v3 row_shr:1 row_mask:0xf bank_mask:0xf
	v_cndmask_b32_e64 v22, v22, 0, s[22:23]
	v_add_u32_e32 v3, v22, v3
	s_nop 1
	v_mov_b32_dpp v22, v3 row_shr:2 row_mask:0xf bank_mask:0xf
	v_cndmask_b32_e64 v22, 0, v22, s[20:21]
	v_add_u32_e32 v3, v3, v22
	;; [unrolled: 4-line block ×4, first 2 shown]
	s_nop 1
	v_mov_b32_dpp v22, v3 row_bcast:15 row_mask:0xf bank_mask:0xf
	v_cndmask_b32_e64 v22, v22, 0, s[14:15]
	v_add_u32_e32 v3, v3, v22
	s_nop 1
	v_mov_b32_dpp v22, v3 row_bcast:31 row_mask:0xf bank_mask:0xf
	v_cndmask_b32_e64 v22, 0, v22, s[10:11]
	v_add_u32_e32 v3, v3, v22
	s_and_saveexec_b64 s[10:11], s[12:13]
; %bb.120:
	ds_write_b32 v19, v3 offset:5184
; %bb.121:
	s_or_b64 exec, exec, s[10:11]
	s_waitcnt lgkmcnt(0)
	s_barrier
	s_and_saveexec_b64 s[10:11], s[4:5]
	s_cbranch_execz .LBB44_123
; %bb.122:
	ds_read_b32 v22, v17 offset:5184
	s_waitcnt lgkmcnt(0)
	s_nop 0
	v_mov_b32_dpp v23, v22 row_shr:1 row_mask:0xf bank_mask:0xf
	v_cndmask_b32_e64 v23, v23, 0, s[8:9]
	v_add_u32_e32 v22, v23, v22
	s_nop 1
	v_mov_b32_dpp v23, v22 row_shr:2 row_mask:0xf bank_mask:0xf
	v_cndmask_b32_e64 v23, 0, v23, s[6:7]
	v_add_u32_e32 v22, v22, v23
	ds_write_b32 v17, v22 offset:5184
.LBB44_123:
	s_or_b64 exec, exec, s[10:11]
	v_mov_b32_e32 v22, 0
	v_mov_b32_e32 v23, 0
	s_waitcnt lgkmcnt(0)
	s_barrier
	s_and_saveexec_b64 s[4:5], s[2:3]
; %bb.124:
	ds_read_b32 v23, v19 offset:5180
; %bb.125:
	s_or_b64 exec, exec, s[4:5]
	s_waitcnt lgkmcnt(0)
	v_add_u32_e32 v3, v23, v3
	ds_bpermute_b32 v3, v18, v3
	ds_read_b32 v18, v22 offset:5192
	s_waitcnt lgkmcnt(1)
	v_cndmask_b32_e64 v3, v3, v23, s[0:1]
	s_waitcnt lgkmcnt(0)
	v_lshl_add_u32 v3, v18, 16, v3
	v_add_u32_e32 v4, v3, v4
	v_add_u32_e32 v5, v4, v5
	;; [unrolled: 1-line block ×7, first 2 shown]
	ds_write2_b64 v16, v[3:4], v[5:6] offset1:1
	ds_write2_b64 v16, v[18:19], v[0:1] offset0:2 offset1:3
	s_waitcnt lgkmcnt(0)
	s_barrier
	ds_read_u16 v0, v20
	v_and_b32_e32 v1, 0xffff, v21
	s_waitcnt lgkmcnt(0)
	s_barrier
	v_add_lshl_u32 v0, v0, v1, 2
	ds_write_b32 v0, v8
	s_waitcnt lgkmcnt(0)
	s_barrier
	ds_read_b32 v1, v17
	v_add_u32_e32 v0, v0, v0
	s_waitcnt lgkmcnt(0)
	s_barrier
	ds_write_b64 v0, v[13:14]
	s_waitcnt lgkmcnt(0)
	s_barrier
.LBB44_126:
	ds_read_b64 v[2:3], v15
	global_store_dword v[9:10], v1, off
	s_waitcnt lgkmcnt(0)
	global_store_dwordx2 v[11:12], v[2:3], off
	s_endpgm
	.section	.rodata,"a",@progbits
	.p2align	6, 0x0
	.amdhsa_kernel _Z21sort_key_value_kernelILj162ELj1ELb1ELb0EjxEvPT3_PT4_jj
		.amdhsa_group_segment_fixed_size 5200
		.amdhsa_private_segment_fixed_size 0
		.amdhsa_kernarg_size 24
		.amdhsa_user_sgpr_count 6
		.amdhsa_user_sgpr_private_segment_buffer 1
		.amdhsa_user_sgpr_dispatch_ptr 0
		.amdhsa_user_sgpr_queue_ptr 0
		.amdhsa_user_sgpr_kernarg_segment_ptr 1
		.amdhsa_user_sgpr_dispatch_id 0
		.amdhsa_user_sgpr_flat_scratch_init 0
		.amdhsa_user_sgpr_private_segment_size 0
		.amdhsa_uses_dynamic_stack 0
		.amdhsa_system_sgpr_private_segment_wavefront_offset 0
		.amdhsa_system_sgpr_workgroup_id_x 1
		.amdhsa_system_sgpr_workgroup_id_y 0
		.amdhsa_system_sgpr_workgroup_id_z 0
		.amdhsa_system_sgpr_workgroup_info 0
		.amdhsa_system_vgpr_workitem_id 0
		.amdhsa_next_free_vgpr 30
		.amdhsa_next_free_sgpr 61
		.amdhsa_reserve_vcc 1
		.amdhsa_reserve_flat_scratch 0
		.amdhsa_float_round_mode_32 0
		.amdhsa_float_round_mode_16_64 0
		.amdhsa_float_denorm_mode_32 3
		.amdhsa_float_denorm_mode_16_64 3
		.amdhsa_dx10_clamp 1
		.amdhsa_ieee_mode 1
		.amdhsa_fp16_overflow 0
		.amdhsa_exception_fp_ieee_invalid_op 0
		.amdhsa_exception_fp_denorm_src 0
		.amdhsa_exception_fp_ieee_div_zero 0
		.amdhsa_exception_fp_ieee_overflow 0
		.amdhsa_exception_fp_ieee_underflow 0
		.amdhsa_exception_fp_ieee_inexact 0
		.amdhsa_exception_int_div_zero 0
	.end_amdhsa_kernel
	.section	.text._Z21sort_key_value_kernelILj162ELj1ELb1ELb0EjxEvPT3_PT4_jj,"axG",@progbits,_Z21sort_key_value_kernelILj162ELj1ELb1ELb0EjxEvPT3_PT4_jj,comdat
.Lfunc_end44:
	.size	_Z21sort_key_value_kernelILj162ELj1ELb1ELb0EjxEvPT3_PT4_jj, .Lfunc_end44-_Z21sort_key_value_kernelILj162ELj1ELb1ELb0EjxEvPT3_PT4_jj
                                        ; -- End function
	.set _Z21sort_key_value_kernelILj162ELj1ELb1ELb0EjxEvPT3_PT4_jj.num_vgpr, 30
	.set _Z21sort_key_value_kernelILj162ELj1ELb1ELb0EjxEvPT3_PT4_jj.num_agpr, 0
	.set _Z21sort_key_value_kernelILj162ELj1ELb1ELb0EjxEvPT3_PT4_jj.numbered_sgpr, 46
	.set _Z21sort_key_value_kernelILj162ELj1ELb1ELb0EjxEvPT3_PT4_jj.num_named_barrier, 0
	.set _Z21sort_key_value_kernelILj162ELj1ELb1ELb0EjxEvPT3_PT4_jj.private_seg_size, 0
	.set _Z21sort_key_value_kernelILj162ELj1ELb1ELb0EjxEvPT3_PT4_jj.uses_vcc, 1
	.set _Z21sort_key_value_kernelILj162ELj1ELb1ELb0EjxEvPT3_PT4_jj.uses_flat_scratch, 0
	.set _Z21sort_key_value_kernelILj162ELj1ELb1ELb0EjxEvPT3_PT4_jj.has_dyn_sized_stack, 0
	.set _Z21sort_key_value_kernelILj162ELj1ELb1ELb0EjxEvPT3_PT4_jj.has_recursion, 0
	.set _Z21sort_key_value_kernelILj162ELj1ELb1ELb0EjxEvPT3_PT4_jj.has_indirect_call, 0
	.section	.AMDGPU.csdata,"",@progbits
; Kernel info:
; codeLenInByte = 7484
; TotalNumSgprs: 50
; NumVgprs: 30
; ScratchSize: 0
; MemoryBound: 0
; FloatMode: 240
; IeeeMode: 1
; LDSByteSize: 5200 bytes/workgroup (compile time only)
; SGPRBlocks: 8
; VGPRBlocks: 7
; NumSGPRsForWavesPerEU: 65
; NumVGPRsForWavesPerEU: 30
; Occupancy: 8
; WaveLimiterHint : 0
; COMPUTE_PGM_RSRC2:SCRATCH_EN: 0
; COMPUTE_PGM_RSRC2:USER_SGPR: 6
; COMPUTE_PGM_RSRC2:TRAP_HANDLER: 0
; COMPUTE_PGM_RSRC2:TGID_X_EN: 1
; COMPUTE_PGM_RSRC2:TGID_Y_EN: 0
; COMPUTE_PGM_RSRC2:TGID_Z_EN: 0
; COMPUTE_PGM_RSRC2:TIDIG_COMP_CNT: 0
	.section	.text._Z21sort_key_value_kernelILj510ELj1ELb0ELb1ExcEvPT3_PT4_jj,"axG",@progbits,_Z21sort_key_value_kernelILj510ELj1ELb0ELb1ExcEvPT3_PT4_jj,comdat
	.protected	_Z21sort_key_value_kernelILj510ELj1ELb0ELb1ExcEvPT3_PT4_jj ; -- Begin function _Z21sort_key_value_kernelILj510ELj1ELb0ELb1ExcEvPT3_PT4_jj
	.globl	_Z21sort_key_value_kernelILj510ELj1ELb0ELb1ExcEvPT3_PT4_jj
	.p2align	8
	.type	_Z21sort_key_value_kernelILj510ELj1ELb0ELb1ExcEvPT3_PT4_jj,@function
_Z21sort_key_value_kernelILj510ELj1ELb0ELb1ExcEvPT3_PT4_jj: ; @_Z21sort_key_value_kernelILj510ELj1ELb0ELb1ExcEvPT3_PT4_jj
; %bb.0:
	s_load_dwordx4 s[0:3], s[4:5], 0x0
	s_load_dwordx2 s[36:37], s[4:5], 0x10
	s_mul_i32 s4, s6, 0x1fe
	s_mov_b32 s5, 0
	s_lshl_b64 s[6:7], s[4:5], 3
	s_waitcnt lgkmcnt(0)
	s_add_u32 s30, s0, s6
	s_addc_u32 s31, s1, s7
	v_lshlrev_b32_e32 v13, 3, v0
	s_add_u32 s34, s2, s4
	global_load_dwordx2 v[1:2], v13, s[30:31]
	s_addc_u32 s35, s3, 0
	global_load_ubyte v24, v0, s[34:35]
	v_mbcnt_lo_u32_b32 v3, -1, 0
	v_mbcnt_hi_u32_b32 v3, -1, v3
	s_cmp_eq_u32 s36, 0
	v_and_b32_e32 v4, 0x1c0, v0
	v_subrev_co_u32_e64 v8, s[6:7], 1, v3
	v_and_b32_e32 v9, 64, v3
	s_cselect_b64 s[26:27], -1, 0
	s_cmp_eq_u32 s37, 64
	s_movk_i32 s8, 0xffe4
	v_lshlrev_b32_e32 v19, 5, v0
	v_lshrrev_b32_e32 v5, 4, v0
	v_min_u32_e32 v4, 0x1be, v4
	v_cmp_lt_i32_e32 vcc, v8, v9
	s_cselect_b64 s[28:29], -1, 0
	v_lshlrev_b32_e32 v17, 2, v0
	v_and_b32_e32 v6, 15, v3
	v_and_b32_e32 v7, 16, v3
	v_cmp_lt_u32_e64 s[4:5], 31, v3
	v_and_b32_e32 v20, 28, v5
	v_mad_i32_i24 v21, v0, s8, v19
	v_and_b32_e32 v5, 7, v3
	v_add_u32_e32 v4, 63, v4
	v_cndmask_b32_e32 v3, v8, v3, vcc
	s_and_b64 s[26:27], s[26:27], s[28:29]
	s_movk_i32 s33, 0x1fe
	v_mov_b32_e32 v14, 0
	v_cmp_gt_u32_e64 s[0:1], 8, v0
	v_cmp_lt_u32_e64 s[2:3], 63, v0
	v_cmp_eq_u32_e64 s[8:9], 0, v6
	v_cmp_lt_u32_e64 s[10:11], 1, v6
	v_cmp_lt_u32_e64 s[12:13], 3, v6
	;; [unrolled: 1-line block ×3, first 2 shown]
	v_cmp_eq_u32_e64 s[16:17], 0, v7
	v_cmp_eq_u32_e64 s[18:19], 0, v5
	v_cmp_lt_u32_e64 s[20:21], 1, v5
	v_cmp_lt_u32_e64 s[22:23], 3, v5
	v_add_u32_e32 v22, v21, v17
	v_cmp_eq_u32_e64 s[24:25], v0, v4
	v_lshlrev_b32_e32 v23, 2, v3
	v_mov_b32_e32 v16, s31
	v_mov_b32_e32 v15, s35
	s_and_b64 vcc, exec, s[26:27]
	s_waitcnt vmcnt(1)
	v_xor_b32_e32 v10, 0x7fffffff, v2
	v_not_b32_e32 v9, v1
	s_cbranch_vccnz .LBB45_14
; %bb.1:
	s_movk_i32 s26, 0x3fc
	v_mov_b32_e32 v1, v9
	v_cmp_gt_u32_e64 s[26:27], s26, v0
	v_cmp_gt_u32_e64 s[28:29], s33, v0
	s_sub_i32 s31, s37, s36
	s_waitcnt vmcnt(0)
	v_mov_b32_e32 v5, v24
	v_mov_b32_e32 v2, v10
	s_branch .LBB45_3
.LBB45_2:                               ;   in Loop: Header=BB45_3 Depth=1
	s_andn2_b64 vcc, exec, s[38:39]
	s_cbranch_vccz .LBB45_15
.LBB45_3:                               ; =>This Inner Loop Header: Depth=1
	v_mov_b32_e32 v12, v2
	v_mov_b32_e32 v11, v1
	;; [unrolled: 1-line block ×3, first 2 shown]
	ds_write_b32 v17, v14
	ds_write_b32 v17, v14 offset:2040
	ds_write_b32 v17, v14 offset:4080
	;; [unrolled: 1-line block ×5, first 2 shown]
	s_and_saveexec_b64 s[38:39], s[26:27]
	s_cbranch_execz .LBB45_6
; %bb.4:                                ;   in Loop: Header=BB45_3 Depth=1
	ds_write_b32 v17, v14 offset:12240
	s_and_b64 exec, exec, s[28:29]
; %bb.5:                                ;   in Loop: Header=BB45_3 Depth=1
	ds_write_b32 v17, v14 offset:14280
.LBB45_6:                               ;   in Loop: Header=BB45_3 Depth=1
	s_or_b64 exec, exec, s[38:39]
	v_lshrrev_b64 v[1:2], s36, v[11:12]
	s_min_u32 s35, s31, 4
	v_bfe_u32 v1, v1, 0, s35
	v_and_b32_e32 v2, 7, v1
	v_lshrrev_b32_e32 v1, 2, v1
	v_mad_u32_u24 v2, v2, s33, v0
	v_and_b32_e32 v1, 30, v1
	v_lshl_add_u32 v26, v2, 2, v1
	ds_read_u16 v25, v26
	s_waitcnt lgkmcnt(0)
	v_add_u16_e32 v1, 1, v25
	ds_write_b16 v26, v1
	s_waitcnt lgkmcnt(0)
	s_barrier
	ds_read2_b64 v[5:8], v19 offset1:1
	ds_read2_b64 v[1:4], v19 offset0:2 offset1:3
	s_waitcnt lgkmcnt(1)
	v_add_u32_e32 v27, v6, v5
	v_add3_u32 v27, v27, v7, v8
	s_waitcnt lgkmcnt(0)
	v_add3_u32 v27, v27, v1, v2
	v_add3_u32 v4, v27, v3, v4
	s_nop 1
	v_mov_b32_dpp v27, v4 row_shr:1 row_mask:0xf bank_mask:0xf
	v_cndmask_b32_e64 v27, v27, 0, s[8:9]
	v_add_u32_e32 v4, v27, v4
	s_nop 1
	v_mov_b32_dpp v27, v4 row_shr:2 row_mask:0xf bank_mask:0xf
	v_cndmask_b32_e64 v27, 0, v27, s[10:11]
	v_add_u32_e32 v4, v4, v27
	;; [unrolled: 4-line block ×4, first 2 shown]
	s_nop 1
	v_mov_b32_dpp v27, v4 row_bcast:15 row_mask:0xf bank_mask:0xf
	v_cndmask_b32_e64 v27, v27, 0, s[16:17]
	v_add_u32_e32 v4, v4, v27
	s_nop 1
	v_mov_b32_dpp v27, v4 row_bcast:31 row_mask:0xf bank_mask:0xf
	v_cndmask_b32_e64 v27, 0, v27, s[4:5]
	v_add_u32_e32 v4, v4, v27
	s_and_saveexec_b64 s[38:39], s[24:25]
; %bb.7:                                ;   in Loop: Header=BB45_3 Depth=1
	ds_write_b32 v20, v4 offset:16320
; %bb.8:                                ;   in Loop: Header=BB45_3 Depth=1
	s_or_b64 exec, exec, s[38:39]
	s_waitcnt lgkmcnt(0)
	s_barrier
	s_and_saveexec_b64 s[38:39], s[0:1]
	s_cbranch_execz .LBB45_10
; %bb.9:                                ;   in Loop: Header=BB45_3 Depth=1
	ds_read_b32 v27, v21 offset:16320
	s_waitcnt lgkmcnt(0)
	s_nop 0
	v_mov_b32_dpp v28, v27 row_shr:1 row_mask:0xf bank_mask:0xf
	v_cndmask_b32_e64 v28, v28, 0, s[18:19]
	v_add_u32_e32 v27, v28, v27
	s_nop 1
	v_mov_b32_dpp v28, v27 row_shr:2 row_mask:0xf bank_mask:0xf
	v_cndmask_b32_e64 v28, 0, v28, s[20:21]
	v_add_u32_e32 v27, v27, v28
	;; [unrolled: 4-line block ×3, first 2 shown]
	ds_write_b32 v21, v27 offset:16320
.LBB45_10:                              ;   in Loop: Header=BB45_3 Depth=1
	s_or_b64 exec, exec, s[38:39]
	v_mov_b32_e32 v27, 0
	s_waitcnt lgkmcnt(0)
	s_barrier
	s_and_saveexec_b64 s[38:39], s[2:3]
; %bb.11:                               ;   in Loop: Header=BB45_3 Depth=1
	ds_read_b32 v27, v20 offset:16316
; %bb.12:                               ;   in Loop: Header=BB45_3 Depth=1
	s_or_b64 exec, exec, s[38:39]
	s_waitcnt lgkmcnt(0)
	v_add_u32_e32 v4, v27, v4
	ds_bpermute_b32 v4, v23, v4
	ds_read_b32 v28, v14 offset:16348
	s_add_i32 s36, s36, 4
	s_cmp_ge_u32 s36, s37
	s_mov_b64 s[38:39], -1
	s_waitcnt lgkmcnt(1)
	v_cndmask_b32_e64 v4, v4, v27, s[6:7]
	s_waitcnt lgkmcnt(0)
	v_lshl_add_u32 v4, v28, 16, v4
	v_add_u32_e32 v5, v4, v5
	v_add_u32_e32 v6, v5, v6
	;; [unrolled: 1-line block ×7, first 2 shown]
	ds_write2_b64 v19, v[4:5], v[6:7] offset1:1
	ds_write2_b64 v19, v[27:28], v[1:2] offset0:2 offset1:3
	s_waitcnt lgkmcnt(0)
	s_barrier
	ds_read_u16 v1, v26
	s_waitcnt lgkmcnt(0)
                                        ; implicit-def: $vgpr5
	v_add_u32_sdwa v3, v1, v25 dst_sel:DWORD dst_unused:UNUSED_PAD src0_sel:DWORD src1_sel:WORD_0
	v_lshlrev_b32_e32 v4, 3, v3
                                        ; implicit-def: $vgpr1_vgpr2
	s_cbranch_scc1 .LBB45_2
; %bb.13:                               ;   in Loop: Header=BB45_3 Depth=1
	s_barrier
	ds_write_b64 v4, v[11:12]
	s_waitcnt lgkmcnt(0)
	s_barrier
	ds_read_b64 v[1:2], v22
	s_waitcnt lgkmcnt(0)
	s_barrier
	ds_write_b8 v3, v18
	s_waitcnt lgkmcnt(0)
	s_barrier
	ds_read_u8 v5, v0
	s_add_i32 s31, s31, -4
	s_mov_b64 s[38:39], 0
	s_waitcnt lgkmcnt(0)
	s_barrier
	s_branch .LBB45_2
.LBB45_14:
	s_mov_b64 s[26:27], -1
                                        ; implicit-def: $vgpr1_vgpr2
	s_branch .LBB45_16
.LBB45_15:
	s_barrier
	ds_write_b64 v4, v[11:12]
	s_waitcnt lgkmcnt(0)
	s_barrier
	ds_read_b64 v[1:2], v22
	s_waitcnt lgkmcnt(0)
	s_barrier
	ds_write_b8 v3, v18
	s_waitcnt lgkmcnt(0)
	s_barrier
	s_mov_b64 s[26:27], 0
.LBB45_16:
	v_add_co_u32_e32 v11, vcc, s30, v13
	v_addc_co_u32_e32 v12, vcc, 0, v16, vcc
	v_add_co_u32_e32 v13, vcc, s34, v0
	v_addc_co_u32_e32 v14, vcc, 0, v15, vcc
	s_and_b64 vcc, exec, s[26:27]
	s_cbranch_vccz .LBB45_31
; %bb.17:
	v_mul_u32_u24_e32 v1, 3, v0
	s_movk_i32 s26, 0x3fc
	s_movk_i32 s33, 0x1fe
	v_mov_b32_e32 v15, 0
	v_cmp_gt_u32_e64 s[26:27], s26, v0
	v_cmp_gt_u32_e64 s[28:29], s33, v0
	v_mov_b32_e32 v16, 0
	v_add_u32_e32 v26, v0, v1
	v_mov_b32_e32 v27, 0
	s_branch .LBB45_19
.LBB45_18:                              ;   in Loop: Header=BB45_19 Depth=1
	s_andn2_b64 vcc, exec, s[30:31]
	s_cbranch_vccz .LBB45_30
.LBB45_19:                              ; =>This Inner Loop Header: Depth=1
	v_mov_b32_e32 v18, v10
	v_mov_b32_e32 v17, v9
	s_waitcnt vmcnt(0)
	v_mov_b32_e32 v25, v24
	ds_write_b32 v26, v27
	ds_write_b32 v26, v27 offset:2040
	ds_write_b32 v26, v27 offset:4080
	ds_write_b32 v26, v27 offset:6120
	ds_write_b32 v26, v27 offset:8160
	ds_write_b32 v26, v27 offset:10200
	s_and_saveexec_b64 s[30:31], s[26:27]
	s_cbranch_execz .LBB45_22
; %bb.20:                               ;   in Loop: Header=BB45_19 Depth=1
	ds_write_b32 v26, v27 offset:12240
	s_and_b64 exec, exec, s[28:29]
; %bb.21:                               ;   in Loop: Header=BB45_19 Depth=1
	ds_write_b32 v26, v27 offset:14280
.LBB45_22:                              ;   in Loop: Header=BB45_19 Depth=1
	s_or_b64 exec, exec, s[30:31]
	v_lshrrev_b64 v[1:2], v15, v[17:18]
	v_and_b32_e32 v2, 7, v1
	v_lshrrev_b32_e32 v1, 2, v1
	v_mad_u32_u24 v2, v2, s33, v0
	v_and_b32_e32 v1, 2, v1
	v_lshl_or_b32 v10, v2, 2, v1
	ds_read_u16 v9, v10
	s_waitcnt lgkmcnt(0)
	v_add_u16_e32 v1, 1, v9
	ds_write_b16 v10, v1
	s_waitcnt lgkmcnt(0)
	s_barrier
	ds_read2_b64 v[5:8], v19 offset1:1
	ds_read2_b64 v[1:4], v19 offset0:2 offset1:3
	s_waitcnt lgkmcnt(1)
	v_add_u32_e32 v24, v6, v5
	v_add3_u32 v24, v24, v7, v8
	s_waitcnt lgkmcnt(0)
	v_add3_u32 v24, v24, v1, v2
	v_add3_u32 v4, v24, v3, v4
	s_nop 1
	v_mov_b32_dpp v24, v4 row_shr:1 row_mask:0xf bank_mask:0xf
	v_cndmask_b32_e64 v24, v24, 0, s[8:9]
	v_add_u32_e32 v4, v24, v4
	s_nop 1
	v_mov_b32_dpp v24, v4 row_shr:2 row_mask:0xf bank_mask:0xf
	v_cndmask_b32_e64 v24, 0, v24, s[10:11]
	v_add_u32_e32 v4, v4, v24
	;; [unrolled: 4-line block ×4, first 2 shown]
	s_nop 1
	v_mov_b32_dpp v24, v4 row_bcast:15 row_mask:0xf bank_mask:0xf
	v_cndmask_b32_e64 v24, v24, 0, s[16:17]
	v_add_u32_e32 v4, v4, v24
	s_nop 1
	v_mov_b32_dpp v24, v4 row_bcast:31 row_mask:0xf bank_mask:0xf
	v_cndmask_b32_e64 v24, 0, v24, s[4:5]
	v_add_u32_e32 v4, v4, v24
	s_and_saveexec_b64 s[30:31], s[24:25]
; %bb.23:                               ;   in Loop: Header=BB45_19 Depth=1
	ds_write_b32 v20, v4 offset:16320
; %bb.24:                               ;   in Loop: Header=BB45_19 Depth=1
	s_or_b64 exec, exec, s[30:31]
	s_waitcnt lgkmcnt(0)
	s_barrier
	s_and_saveexec_b64 s[30:31], s[0:1]
	s_cbranch_execz .LBB45_26
; %bb.25:                               ;   in Loop: Header=BB45_19 Depth=1
	ds_read_b32 v24, v21 offset:16320
	s_waitcnt lgkmcnt(0)
	s_nop 0
	v_mov_b32_dpp v28, v24 row_shr:1 row_mask:0xf bank_mask:0xf
	v_cndmask_b32_e64 v28, v28, 0, s[18:19]
	v_add_u32_e32 v24, v28, v24
	s_nop 1
	v_mov_b32_dpp v28, v24 row_shr:2 row_mask:0xf bank_mask:0xf
	v_cndmask_b32_e64 v28, 0, v28, s[20:21]
	v_add_u32_e32 v24, v24, v28
	;; [unrolled: 4-line block ×3, first 2 shown]
	ds_write_b32 v21, v24 offset:16320
.LBB45_26:                              ;   in Loop: Header=BB45_19 Depth=1
	s_or_b64 exec, exec, s[30:31]
	v_mov_b32_e32 v24, 0
	s_waitcnt lgkmcnt(0)
	s_barrier
	s_and_saveexec_b64 s[30:31], s[2:3]
; %bb.27:                               ;   in Loop: Header=BB45_19 Depth=1
	ds_read_b32 v24, v20 offset:16316
; %bb.28:                               ;   in Loop: Header=BB45_19 Depth=1
	s_or_b64 exec, exec, s[30:31]
	s_waitcnt lgkmcnt(0)
	v_add_u32_e32 v4, v24, v4
	ds_bpermute_b32 v4, v23, v4
	ds_read_b32 v28, v27 offset:16348
	v_cmp_lt_u32_e32 vcc, 59, v15
	s_and_b64 vcc, exec, vcc
	s_mov_b64 s[30:31], -1
	s_waitcnt lgkmcnt(1)
	v_cndmask_b32_e64 v4, v4, v24, s[6:7]
	s_waitcnt lgkmcnt(0)
	v_lshl_add_u32 v4, v28, 16, v4
	v_add_u32_e32 v5, v4, v5
	v_add_u32_e32 v6, v5, v6
	;; [unrolled: 1-line block ×7, first 2 shown]
	ds_write2_b64 v19, v[4:5], v[6:7] offset1:1
	ds_write2_b64 v19, v[28:29], v[1:2] offset0:2 offset1:3
	s_waitcnt lgkmcnt(0)
	s_barrier
	ds_read_u16 v1, v10
                                        ; implicit-def: $vgpr24
	s_waitcnt lgkmcnt(0)
	v_add_u32_sdwa v3, v1, v9 dst_sel:DWORD dst_unused:UNUSED_PAD src0_sel:DWORD src1_sel:WORD_0
                                        ; implicit-def: $vgpr9_vgpr10
	s_cbranch_vccnz .LBB45_18
; %bb.29:                               ;   in Loop: Header=BB45_19 Depth=1
	v_lshlrev_b32_e32 v1, 3, v3
	s_barrier
	ds_write_b64 v1, v[17:18]
	s_waitcnt lgkmcnt(0)
	s_barrier
	ds_read_b64 v[9:10], v22
	s_waitcnt lgkmcnt(0)
	s_barrier
	ds_write_b8 v3, v25
	s_waitcnt lgkmcnt(0)
	s_barrier
	ds_read_u8 v24, v0
	v_add_co_u32_e32 v15, vcc, 4, v15
	v_addc_co_u32_e32 v16, vcc, 0, v16, vcc
	s_mov_b64 s[30:31], 0
	s_waitcnt lgkmcnt(0)
	s_barrier
	s_branch .LBB45_18
.LBB45_30:
	v_lshlrev_b32_e32 v1, 3, v3
	s_barrier
	ds_write_b64 v1, v[17:18]
	s_waitcnt lgkmcnt(0)
	s_barrier
	ds_read_b64 v[1:2], v22
	s_waitcnt lgkmcnt(0)
	s_barrier
	ds_write_b8 v3, v25
	s_waitcnt lgkmcnt(0)
	s_barrier
.LBB45_31:
	ds_read_u8 v0, v0
	v_xor_b32_e32 v2, 0x7fffffff, v2
	v_not_b32_e32 v1, v1
	global_store_dwordx2 v[11:12], v[1:2], off
	s_waitcnt lgkmcnt(0)
	global_store_byte v[13:14], v0, off
	s_endpgm
	.section	.rodata,"a",@progbits
	.p2align	6, 0x0
	.amdhsa_kernel _Z21sort_key_value_kernelILj510ELj1ELb0ELb1ExcEvPT3_PT4_jj
		.amdhsa_group_segment_fixed_size 16352
		.amdhsa_private_segment_fixed_size 0
		.amdhsa_kernarg_size 24
		.amdhsa_user_sgpr_count 6
		.amdhsa_user_sgpr_private_segment_buffer 1
		.amdhsa_user_sgpr_dispatch_ptr 0
		.amdhsa_user_sgpr_queue_ptr 0
		.amdhsa_user_sgpr_kernarg_segment_ptr 1
		.amdhsa_user_sgpr_dispatch_id 0
		.amdhsa_user_sgpr_flat_scratch_init 0
		.amdhsa_user_sgpr_private_segment_size 0
		.amdhsa_uses_dynamic_stack 0
		.amdhsa_system_sgpr_private_segment_wavefront_offset 0
		.amdhsa_system_sgpr_workgroup_id_x 1
		.amdhsa_system_sgpr_workgroup_id_y 0
		.amdhsa_system_sgpr_workgroup_id_z 0
		.amdhsa_system_sgpr_workgroup_info 0
		.amdhsa_system_vgpr_workitem_id 0
		.amdhsa_next_free_vgpr 30
		.amdhsa_next_free_sgpr 61
		.amdhsa_reserve_vcc 1
		.amdhsa_reserve_flat_scratch 0
		.amdhsa_float_round_mode_32 0
		.amdhsa_float_round_mode_16_64 0
		.amdhsa_float_denorm_mode_32 3
		.amdhsa_float_denorm_mode_16_64 3
		.amdhsa_dx10_clamp 1
		.amdhsa_ieee_mode 1
		.amdhsa_fp16_overflow 0
		.amdhsa_exception_fp_ieee_invalid_op 0
		.amdhsa_exception_fp_denorm_src 0
		.amdhsa_exception_fp_ieee_div_zero 0
		.amdhsa_exception_fp_ieee_overflow 0
		.amdhsa_exception_fp_ieee_underflow 0
		.amdhsa_exception_fp_ieee_inexact 0
		.amdhsa_exception_int_div_zero 0
	.end_amdhsa_kernel
	.section	.text._Z21sort_key_value_kernelILj510ELj1ELb0ELb1ExcEvPT3_PT4_jj,"axG",@progbits,_Z21sort_key_value_kernelILj510ELj1ELb0ELb1ExcEvPT3_PT4_jj,comdat
.Lfunc_end45:
	.size	_Z21sort_key_value_kernelILj510ELj1ELb0ELb1ExcEvPT3_PT4_jj, .Lfunc_end45-_Z21sort_key_value_kernelILj510ELj1ELb0ELb1ExcEvPT3_PT4_jj
                                        ; -- End function
	.set _Z21sort_key_value_kernelILj510ELj1ELb0ELb1ExcEvPT3_PT4_jj.num_vgpr, 30
	.set _Z21sort_key_value_kernelILj510ELj1ELb0ELb1ExcEvPT3_PT4_jj.num_agpr, 0
	.set _Z21sort_key_value_kernelILj510ELj1ELb0ELb1ExcEvPT3_PT4_jj.numbered_sgpr, 40
	.set _Z21sort_key_value_kernelILj510ELj1ELb0ELb1ExcEvPT3_PT4_jj.num_named_barrier, 0
	.set _Z21sort_key_value_kernelILj510ELj1ELb0ELb1ExcEvPT3_PT4_jj.private_seg_size, 0
	.set _Z21sort_key_value_kernelILj510ELj1ELb0ELb1ExcEvPT3_PT4_jj.uses_vcc, 1
	.set _Z21sort_key_value_kernelILj510ELj1ELb0ELb1ExcEvPT3_PT4_jj.uses_flat_scratch, 0
	.set _Z21sort_key_value_kernelILj510ELj1ELb0ELb1ExcEvPT3_PT4_jj.has_dyn_sized_stack, 0
	.set _Z21sort_key_value_kernelILj510ELj1ELb0ELb1ExcEvPT3_PT4_jj.has_recursion, 0
	.set _Z21sort_key_value_kernelILj510ELj1ELb0ELb1ExcEvPT3_PT4_jj.has_indirect_call, 0
	.section	.AMDGPU.csdata,"",@progbits
; Kernel info:
; codeLenInByte = 2112
; TotalNumSgprs: 44
; NumVgprs: 30
; ScratchSize: 0
; MemoryBound: 0
; FloatMode: 240
; IeeeMode: 1
; LDSByteSize: 16352 bytes/workgroup (compile time only)
; SGPRBlocks: 8
; VGPRBlocks: 7
; NumSGPRsForWavesPerEU: 65
; NumVGPRsForWavesPerEU: 30
; Occupancy: 8
; WaveLimiterHint : 0
; COMPUTE_PGM_RSRC2:SCRATCH_EN: 0
; COMPUTE_PGM_RSRC2:USER_SGPR: 6
; COMPUTE_PGM_RSRC2:TRAP_HANDLER: 0
; COMPUTE_PGM_RSRC2:TGID_X_EN: 1
; COMPUTE_PGM_RSRC2:TGID_Y_EN: 0
; COMPUTE_PGM_RSRC2:TGID_Z_EN: 0
; COMPUTE_PGM_RSRC2:TIDIG_COMP_CNT: 0
	.section	.text._Z21sort_key_value_kernelILj37ELj1ELb0ELb0E6__halfiEvPT3_PT4_jj,"axG",@progbits,_Z21sort_key_value_kernelILj37ELj1ELb0ELb0E6__halfiEvPT3_PT4_jj,comdat
	.protected	_Z21sort_key_value_kernelILj37ELj1ELb0ELb0E6__halfiEvPT3_PT4_jj ; -- Begin function _Z21sort_key_value_kernelILj37ELj1ELb0ELb0E6__halfiEvPT3_PT4_jj
	.globl	_Z21sort_key_value_kernelILj37ELj1ELb0ELb0E6__halfiEvPT3_PT4_jj
	.p2align	8
	.type	_Z21sort_key_value_kernelILj37ELj1ELb0ELb0E6__halfiEvPT3_PT4_jj,@function
_Z21sort_key_value_kernelILj37ELj1ELb0ELb0E6__halfiEvPT3_PT4_jj: ; @_Z21sort_key_value_kernelILj37ELj1ELb0ELb0E6__halfiEvPT3_PT4_jj
; %bb.0:
	s_load_dwordx4 s[0:3], s[4:5], 0x0
	s_load_dwordx2 s[38:39], s[4:5], 0x10
	s_mul_i32 s4, s6, 37
	s_mov_b32 s5, 0
	s_lshl_b64 s[6:7], s[4:5], 1
	s_waitcnt lgkmcnt(0)
	s_add_u32 s34, s0, s6
	s_addc_u32 s35, s1, s7
	v_lshlrev_b32_e32 v13, 1, v0
	global_load_ushort v1, v13, s[34:35]
	s_lshl_b64 s[0:1], s[4:5], 2
	s_add_u32 s36, s2, s0
	s_addc_u32 s37, s3, s1
	v_lshlrev_b32_e32 v17, 2, v0
	global_load_dword v18, v17, s[36:37]
	v_mbcnt_lo_u32_b32 v2, -1, 0
	s_cmp_eq_u32 s38, 0
	s_movk_i32 s0, 0x128
	v_mbcnt_hi_u32_b32 v2, -1, v2
	s_cselect_b64 s[18:19], -1, 0
	s_cmp_eq_u32 s39, 16
	v_cmp_gt_u32_e64 s[16:17], s0, v0
	v_subrev_co_u32_e64 v5, s[0:1], 1, v2
	v_and_b32_e32 v6, 64, v2
	s_cselect_b64 s[20:21], -1, 0
	v_cmp_lt_i32_e32 vcc, v5, v6
	s_and_b64 s[18:19], s[18:19], s[20:21]
	v_mov_b32_e32 v10, 0xffff8000
	v_and_b32_e32 v3, 15, v2
	v_and_b32_e32 v4, 16, v2
	v_cmp_lt_u32_e64 s[4:5], 31, v2
	v_cndmask_b32_e32 v2, v5, v2, vcc
	s_and_b64 vcc, exec, s[18:19]
	s_movk_i32 s6, 0xffe2
	v_lshlrev_b32_e32 v15, 5, v0
	v_lshlrev_b32_e32 v16, 2, v2
	v_mov_b32_e32 v9, 0
	v_cmp_eq_u32_e64 s[2:3], 36, v0
	v_mad_i32_i24 v14, v0, s6, v15
	v_cmp_eq_u32_e64 s[14:15], 0, v3
	v_cmp_lt_u32_e64 s[12:13], 1, v3
	v_cmp_lt_u32_e64 s[10:11], 3, v3
	;; [unrolled: 1-line block ×3, first 2 shown]
	v_cmp_eq_u32_e64 s[6:7], 0, v4
	v_mov_b32_e32 v11, s35
	v_mov_b32_e32 v12, s37
	s_waitcnt vmcnt(1)
	v_cmp_lt_i16_e64 s[18:19], -1, v1
	v_cndmask_b32_e64 v2, -1, v10, s[18:19]
	v_xor_b32_e32 v19, v2, v1
	s_cbranch_vccnz .LBB46_16
; %bb.1:
	s_movk_i32 s18, 0x103
	s_movk_i32 s20, 0xde
	;; [unrolled: 1-line block ×6, first 2 shown]
	s_sub_i32 s33, s39, s38
	v_cmp_gt_u32_e64 s[18:19], s18, v0
	v_cmp_gt_u32_e64 s[20:21], s20, v0
	v_cmp_gt_u32_e64 s[22:23], s22, v0
	v_cmp_gt_u32_e64 s[24:25], s24, v0
	v_cmp_gt_u32_e64 s[26:27], s26, v0
	v_cmp_gt_u32_e64 s[28:29], s28, v0
	v_cmp_gt_u32_e64 s[30:31], 37, v0
	v_mov_b32_e32 v21, s33
	s_movk_i32 s33, 0x7fff
	s_waitcnt vmcnt(0)
	v_mov_b32_e32 v3, v18
	v_mov_b32_e32 v2, v19
	s_branch .LBB46_3
.LBB46_2:                               ;   in Loop: Header=BB46_3 Depth=1
	s_andn2_b64 vcc, exec, s[40:41]
	s_cbranch_vccz .LBB46_17
.LBB46_3:                               ; =>This Inner Loop Header: Depth=1
	v_mov_b32_e32 v22, v2
	v_mov_b32_e32 v20, v3
	s_and_saveexec_b64 s[40:41], s[16:17]
	s_cbranch_execz .LBB46_12
; %bb.4:                                ;   in Loop: Header=BB46_3 Depth=1
	ds_write_b32 v17, v9
	s_and_b64 exec, exec, s[18:19]
	s_cbranch_execz .LBB46_12
; %bb.5:                                ;   in Loop: Header=BB46_3 Depth=1
	ds_write_b32 v17, v9 offset:148
	s_and_b64 exec, exec, s[20:21]
	s_cbranch_execz .LBB46_12
; %bb.6:                                ;   in Loop: Header=BB46_3 Depth=1
	ds_write_b32 v17, v9 offset:296
	;; [unrolled: 4-line block ×5, first 2 shown]
	s_and_b64 exec, exec, s[28:29]
	s_cbranch_execz .LBB46_12
; %bb.10:                               ;   in Loop: Header=BB46_3 Depth=1
	ds_write_b32 v17, v9 offset:888
	s_and_b64 exec, exec, s[30:31]
; %bb.11:                               ;   in Loop: Header=BB46_3 Depth=1
	ds_write_b32 v17, v9 offset:1036
.LBB46_12:                              ;   in Loop: Header=BB46_3 Depth=1
	s_or_b64 exec, exec, s[40:41]
	v_cmp_ne_u16_e32 vcc, s33, v22
	v_cndmask_b32_e32 v2, v10, v22, vcc
	v_min_u32_e32 v1, 4, v21
	v_lshrrev_b32_sdwa v2, s38, v2 dst_sel:DWORD dst_unused:UNUSED_PAD src0_sel:DWORD src1_sel:WORD_0
	v_bfe_u32 v1, v2, 0, v1
	v_and_b32_e32 v2, 7, v1
	v_lshrrev_b32_e32 v1, 2, v1
	v_mad_u32_u24 v2, v2, 37, v0
	v_and_b32_e32 v1, 30, v1
	v_lshl_add_u32 v23, v2, 2, v1
	ds_read_u16 v24, v23
	s_waitcnt lgkmcnt(0)
	v_add_u16_e32 v1, 1, v24
	ds_write_b16 v23, v1
	s_waitcnt lgkmcnt(0)
	; wave barrier
	ds_read2_b64 v[5:8], v15 offset1:1
	ds_read2_b64 v[1:4], v15 offset0:2 offset1:3
	s_waitcnt lgkmcnt(1)
	v_add_u32_e32 v25, v6, v5
	v_add3_u32 v25, v25, v7, v8
	s_waitcnt lgkmcnt(0)
	v_add3_u32 v25, v25, v1, v2
	v_add3_u32 v4, v25, v3, v4
	s_nop 1
	v_mov_b32_dpp v25, v4 row_shr:1 row_mask:0xf bank_mask:0xf
	v_cndmask_b32_e64 v25, v25, 0, s[14:15]
	v_add_u32_e32 v4, v25, v4
	s_nop 1
	v_mov_b32_dpp v25, v4 row_shr:2 row_mask:0xf bank_mask:0xf
	v_cndmask_b32_e64 v25, 0, v25, s[12:13]
	v_add_u32_e32 v4, v4, v25
	;; [unrolled: 4-line block ×4, first 2 shown]
	s_nop 1
	v_mov_b32_dpp v25, v4 row_bcast:15 row_mask:0xf bank_mask:0xf
	v_cndmask_b32_e64 v25, v25, 0, s[6:7]
	v_add_u32_e32 v4, v4, v25
	s_nop 1
	v_mov_b32_dpp v25, v4 row_bcast:31 row_mask:0xf bank_mask:0xf
	v_cndmask_b32_e64 v25, 0, v25, s[4:5]
	v_add_u32_e32 v4, v4, v25
	s_and_saveexec_b64 s[40:41], s[2:3]
; %bb.13:                               ;   in Loop: Header=BB46_3 Depth=1
	ds_write_b32 v9, v4 offset:1184
; %bb.14:                               ;   in Loop: Header=BB46_3 Depth=1
	s_or_b64 exec, exec, s[40:41]
	ds_bpermute_b32 v4, v16, v4
	s_waitcnt lgkmcnt(0)
	; wave barrier
	ds_read_b32 v25, v9 offset:1184
	s_add_i32 s38, s38, 4
	v_cndmask_b32_e64 v4, v4, 0, s[0:1]
	s_cmp_ge_u32 s38, s39
	s_mov_b64 s[40:41], -1
	s_waitcnt lgkmcnt(0)
	v_lshl_add_u32 v4, v25, 16, v4
	v_add_u32_e32 v5, v4, v5
	v_add_u32_e32 v6, v5, v6
	;; [unrolled: 1-line block ×7, first 2 shown]
	ds_write2_b64 v15, v[4:5], v[6:7] offset1:1
	ds_write2_b64 v15, v[25:26], v[1:2] offset0:2 offset1:3
	s_waitcnt lgkmcnt(0)
	; wave barrier
	ds_read_u16 v1, v23
	v_and_b32_e32 v2, 0xffff, v24
	s_waitcnt lgkmcnt(0)
                                        ; implicit-def: $vgpr3
	v_add_lshl_u32 v1, v1, v2, 1
                                        ; implicit-def: $vgpr2
	s_cbranch_scc1 .LBB46_2
; %bb.15:                               ;   in Loop: Header=BB46_3 Depth=1
	v_add_u32_e32 v3, v1, v1
	; wave barrier
	ds_write_b16 v1, v22
	s_waitcnt lgkmcnt(0)
	; wave barrier
	ds_read_u16 v2, v14
	s_waitcnt lgkmcnt(0)
	; wave barrier
	ds_write_b32 v3, v20
	v_add_u32_e32 v3, v14, v13
	s_waitcnt lgkmcnt(0)
	; wave barrier
	ds_read_b32 v3, v3
	v_add_u32_e32 v21, -4, v21
	s_mov_b64 s[40:41], 0
	s_waitcnt lgkmcnt(0)
	; wave barrier
	s_branch .LBB46_2
.LBB46_16:
	s_mov_b64 s[18:19], -1
                                        ; implicit-def: $vgpr2
	s_branch .LBB46_18
.LBB46_17:
	; wave barrier
	ds_write_b16 v1, v22
	s_waitcnt lgkmcnt(0)
	; wave barrier
	ds_read_u16 v2, v14
	v_add_u32_e32 v1, v1, v1
	s_mov_b64 s[18:19], 0
	s_waitcnt lgkmcnt(0)
	; wave barrier
	ds_write_b32 v1, v20
	s_waitcnt lgkmcnt(0)
	; wave barrier
.LBB46_18:
	v_add_co_u32_e32 v9, vcc, s34, v13
	v_addc_co_u32_e32 v10, vcc, 0, v11, vcc
	v_add_co_u32_e32 v11, vcc, s36, v17
	v_addc_co_u32_e32 v12, vcc, 0, v12, vcc
	s_and_b64 vcc, exec, s[18:19]
	s_cbranch_vccz .LBB46_64
; %bb.19:
	s_and_saveexec_b64 s[18:19], s[16:17]
	s_cbranch_execz .LBB46_28
; %bb.20:
	s_movk_i32 s20, 0x103
	v_add_u32_e32 v1, v14, v13
	v_mov_b32_e32 v2, 0
	v_cmp_gt_u32_e32 vcc, s20, v0
	ds_write_b32 v1, v2
	s_and_b64 exec, exec, vcc
	s_cbranch_execz .LBB46_28
; %bb.21:
	s_movk_i32 s20, 0xde
	v_cmp_gt_u32_e32 vcc, s20, v0
	ds_write_b32 v1, v2 offset:148
	s_and_b64 exec, exec, vcc
	s_cbranch_execz .LBB46_28
; %bb.22:
	s_movk_i32 s20, 0xb9
	v_mov_b32_e32 v2, 0
	v_cmp_gt_u32_e32 vcc, s20, v0
	ds_write_b32 v1, v2 offset:296
	s_and_b64 exec, exec, vcc
	s_cbranch_execz .LBB46_28
; %bb.23:
	s_movk_i32 s20, 0x94
	v_cmp_gt_u32_e32 vcc, s20, v0
	ds_write_b32 v1, v2 offset:444
	s_and_b64 exec, exec, vcc
	s_cbranch_execz .LBB46_28
; %bb.24:
	s_movk_i32 s20, 0x6f
	v_mov_b32_e32 v2, 0
	v_cmp_gt_u32_e32 vcc, s20, v0
	ds_write_b32 v1, v2 offset:592
	s_and_b64 exec, exec, vcc
	s_cbranch_execz .LBB46_28
; %bb.25:
	s_movk_i32 s20, 0x4a
	v_cmp_gt_u32_e32 vcc, s20, v0
	ds_write_b32 v1, v2 offset:740
	s_and_b64 exec, exec, vcc
	s_cbranch_execz .LBB46_28
; %bb.26:
	v_mov_b32_e32 v2, 0
	v_cmp_gt_u32_e32 vcc, 37, v0
	ds_write_b32 v1, v2 offset:888
	s_and_b64 exec, exec, vcc
; %bb.27:
	ds_write_b32 v1, v2 offset:1036
.LBB46_28:
	s_or_b64 exec, exec, s[18:19]
	s_movk_i32 s18, 0x7fff
	v_mov_b32_e32 v1, 0xffff8000
	v_cmp_ne_u16_e32 vcc, s18, v19
	v_cndmask_b32_e32 v1, v1, v19, vcc
	v_mov_b32_e32 v2, 7
	v_mov_b32_e32 v3, 2
	v_and_b32_sdwa v2, v1, v2 dst_sel:DWORD dst_unused:UNUSED_PAD src0_sel:WORD_0 src1_sel:DWORD
	v_lshrrev_b32_sdwa v1, v3, v1 dst_sel:DWORD dst_unused:UNUSED_PAD src0_sel:DWORD src1_sel:WORD_0
	v_mad_u32_u24 v2, v2, 37, v0
	v_and_b32_e32 v1, 2, v1
	v_lshl_or_b32 v20, v2, 2, v1
	ds_read_u16 v21, v20
	s_waitcnt lgkmcnt(0)
	v_add_u16_e32 v1, 1, v21
	ds_write_b16 v20, v1
	s_waitcnt lgkmcnt(0)
	; wave barrier
	ds_read2_b64 v[5:8], v15 offset1:1
	ds_read2_b64 v[1:4], v15 offset0:2 offset1:3
	s_waitcnt lgkmcnt(1)
	v_add_u32_e32 v22, v6, v5
	v_add3_u32 v22, v22, v7, v8
	s_waitcnt lgkmcnt(0)
	v_add3_u32 v22, v22, v1, v2
	v_add3_u32 v4, v22, v3, v4
	s_nop 1
	v_mov_b32_dpp v22, v4 row_shr:1 row_mask:0xf bank_mask:0xf
	v_cndmask_b32_e64 v22, v22, 0, s[14:15]
	v_add_u32_e32 v4, v22, v4
	s_nop 1
	v_mov_b32_dpp v22, v4 row_shr:2 row_mask:0xf bank_mask:0xf
	v_cndmask_b32_e64 v22, 0, v22, s[12:13]
	v_add_u32_e32 v4, v4, v22
	;; [unrolled: 4-line block ×4, first 2 shown]
	s_nop 1
	v_mov_b32_dpp v22, v4 row_bcast:15 row_mask:0xf bank_mask:0xf
	v_cndmask_b32_e64 v22, v22, 0, s[6:7]
	v_add_u32_e32 v4, v4, v22
	s_nop 1
	v_mov_b32_dpp v22, v4 row_bcast:31 row_mask:0xf bank_mask:0xf
	v_cndmask_b32_e64 v22, 0, v22, s[4:5]
	v_add_u32_e32 v4, v4, v22
	s_and_saveexec_b64 s[18:19], s[2:3]
; %bb.29:
	v_mov_b32_e32 v22, 0
	ds_write_b32 v22, v4 offset:1184
; %bb.30:
	s_or_b64 exec, exec, s[18:19]
	ds_bpermute_b32 v22, v16, v4
	v_mov_b32_e32 v4, 0
	s_waitcnt lgkmcnt(0)
	; wave barrier
	ds_read_b32 v23, v4 offset:1184
	v_cndmask_b32_e64 v22, v22, 0, s[0:1]
	s_waitcnt lgkmcnt(0)
	v_lshl_add_u32 v22, v23, 16, v22
	v_add_u32_e32 v23, v22, v5
	v_add_u32_e32 v5, v23, v6
	;; [unrolled: 1-line block ×7, first 2 shown]
	ds_write2_b64 v15, v[22:23], v[5:6] offset1:1
	ds_write2_b64 v15, v[7:8], v[1:2] offset0:2 offset1:3
	s_waitcnt lgkmcnt(0)
	; wave barrier
	ds_read_u16 v1, v20
	v_and_b32_e32 v2, 0xffff, v21
	s_waitcnt lgkmcnt(0)
	; wave barrier
	v_add_lshl_u32 v1, v1, v2, 1
	ds_write_b16 v1, v19
	v_add_u32_e32 v1, v1, v1
	s_waitcnt lgkmcnt(0)
	; wave barrier
	ds_read_u16 v19, v14
	s_waitcnt vmcnt(0) lgkmcnt(0)
	; wave barrier
	ds_write_b32 v1, v18
	v_add_u32_e32 v18, v14, v13
	s_waitcnt lgkmcnt(0)
	; wave barrier
	ds_read_b32 v20, v18
	s_waitcnt lgkmcnt(0)
	; wave barrier
	s_and_saveexec_b64 s[18:19], s[16:17]
	s_cbranch_execz .LBB46_39
; %bb.31:
	s_movk_i32 s20, 0x103
	v_cmp_gt_u32_e32 vcc, s20, v0
	ds_write_b32 v17, v4
	s_and_b64 exec, exec, vcc
	s_cbranch_execz .LBB46_39
; %bb.32:
	s_movk_i32 s20, 0xde
	v_mov_b32_e32 v1, 0
	v_cmp_gt_u32_e32 vcc, s20, v0
	ds_write_b32 v17, v1 offset:148
	s_and_b64 exec, exec, vcc
	s_cbranch_execz .LBB46_39
; %bb.33:
	s_movk_i32 s20, 0xb9
	v_cmp_gt_u32_e32 vcc, s20, v0
	ds_write_b32 v17, v1 offset:296
	s_and_b64 exec, exec, vcc
	s_cbranch_execz .LBB46_39
; %bb.34:
	s_movk_i32 s20, 0x94
	v_mov_b32_e32 v1, 0
	v_cmp_gt_u32_e32 vcc, s20, v0
	ds_write_b32 v17, v1 offset:444
	s_and_b64 exec, exec, vcc
	s_cbranch_execz .LBB46_39
; %bb.35:
	s_movk_i32 s20, 0x6f
	v_cmp_gt_u32_e32 vcc, s20, v0
	ds_write_b32 v17, v1 offset:592
	s_and_b64 exec, exec, vcc
	s_cbranch_execz .LBB46_39
; %bb.36:
	s_movk_i32 s20, 0x4a
	v_mov_b32_e32 v1, 0
	v_cmp_gt_u32_e32 vcc, s20, v0
	ds_write_b32 v17, v1 offset:740
	s_and_b64 exec, exec, vcc
	s_cbranch_execz .LBB46_39
; %bb.37:
	v_cmp_gt_u32_e32 vcc, 37, v0
	ds_write_b32 v17, v1 offset:888
	s_and_b64 exec, exec, vcc
; %bb.38:
	v_mov_b32_e32 v1, 0
	ds_write_b32 v17, v1 offset:1036
.LBB46_39:
	s_or_b64 exec, exec, s[18:19]
	s_movk_i32 s18, 0x7fff
	v_lshrrev_b16_e32 v1, 4, v19
	v_mov_b32_e32 v2, 0x800
	v_cmp_ne_u16_e32 vcc, s18, v19
	v_cndmask_b32_e32 v1, v2, v1, vcc
	v_mov_b32_e32 v2, 7
	v_mov_b32_e32 v3, 2
	v_and_b32_sdwa v2, v1, v2 dst_sel:DWORD dst_unused:UNUSED_PAD src0_sel:WORD_0 src1_sel:DWORD
	v_lshrrev_b32_sdwa v1, v3, v1 dst_sel:DWORD dst_unused:UNUSED_PAD src0_sel:DWORD src1_sel:WORD_0
	v_mad_u32_u24 v2, v2, 37, v0
	v_and_b32_e32 v1, 2, v1
	v_lshl_or_b32 v21, v2, 2, v1
	ds_read_u16 v22, v21
	s_waitcnt lgkmcnt(0)
	v_add_u16_e32 v1, 1, v22
	ds_write_b16 v21, v1
	s_waitcnt lgkmcnt(0)
	; wave barrier
	ds_read2_b64 v[5:8], v15 offset1:1
	ds_read2_b64 v[1:4], v15 offset0:2 offset1:3
	s_waitcnt lgkmcnt(1)
	v_add_u32_e32 v23, v6, v5
	v_add3_u32 v23, v23, v7, v8
	s_waitcnt lgkmcnt(0)
	v_add3_u32 v23, v23, v1, v2
	v_add3_u32 v4, v23, v3, v4
	s_nop 1
	v_mov_b32_dpp v23, v4 row_shr:1 row_mask:0xf bank_mask:0xf
	v_cndmask_b32_e64 v23, v23, 0, s[14:15]
	v_add_u32_e32 v4, v23, v4
	s_nop 1
	v_mov_b32_dpp v23, v4 row_shr:2 row_mask:0xf bank_mask:0xf
	v_cndmask_b32_e64 v23, 0, v23, s[12:13]
	v_add_u32_e32 v4, v4, v23
	;; [unrolled: 4-line block ×4, first 2 shown]
	s_nop 1
	v_mov_b32_dpp v23, v4 row_bcast:15 row_mask:0xf bank_mask:0xf
	v_cndmask_b32_e64 v23, v23, 0, s[6:7]
	v_add_u32_e32 v4, v4, v23
	s_nop 1
	v_mov_b32_dpp v23, v4 row_bcast:31 row_mask:0xf bank_mask:0xf
	v_cndmask_b32_e64 v23, 0, v23, s[4:5]
	v_add_u32_e32 v4, v4, v23
	s_and_saveexec_b64 s[18:19], s[2:3]
; %bb.40:
	v_mov_b32_e32 v23, 0
	ds_write_b32 v23, v4 offset:1184
; %bb.41:
	s_or_b64 exec, exec, s[18:19]
	ds_bpermute_b32 v23, v16, v4
	v_mov_b32_e32 v4, 0
	s_waitcnt lgkmcnt(0)
	; wave barrier
	ds_read_b32 v24, v4 offset:1184
	v_cndmask_b32_e64 v23, v23, 0, s[0:1]
	s_waitcnt lgkmcnt(0)
	v_lshl_add_u32 v23, v24, 16, v23
	v_add_u32_e32 v24, v23, v5
	v_add_u32_e32 v5, v24, v6
	v_add_u32_e32 v6, v5, v7
	v_add_u32_e32 v7, v6, v8
	v_add_u32_e32 v8, v7, v1
	v_add_u32_e32 v1, v8, v2
	v_add_u32_e32 v2, v1, v3
	ds_write2_b64 v15, v[23:24], v[5:6] offset1:1
	ds_write2_b64 v15, v[7:8], v[1:2] offset0:2 offset1:3
	s_waitcnt lgkmcnt(0)
	; wave barrier
	ds_read_u16 v1, v21
	v_and_b32_e32 v2, 0xffff, v22
	s_waitcnt lgkmcnt(0)
	; wave barrier
	v_add_lshl_u32 v1, v1, v2, 1
	ds_write_b16 v1, v19
	v_add_u32_e32 v1, v1, v1
	s_waitcnt lgkmcnt(0)
	; wave barrier
	ds_read_u16 v19, v14
	s_waitcnt lgkmcnt(0)
	; wave barrier
	ds_write_b32 v1, v20
	s_waitcnt lgkmcnt(0)
	; wave barrier
	ds_read_b32 v20, v18
	s_waitcnt lgkmcnt(0)
	; wave barrier
	s_and_saveexec_b64 s[18:19], s[16:17]
	s_cbranch_execz .LBB46_50
; %bb.42:
	s_movk_i32 s20, 0x103
	v_cmp_gt_u32_e32 vcc, s20, v0
	ds_write_b32 v17, v4
	s_and_b64 exec, exec, vcc
	s_cbranch_execz .LBB46_50
; %bb.43:
	s_movk_i32 s20, 0xde
	v_mov_b32_e32 v1, 0
	v_cmp_gt_u32_e32 vcc, s20, v0
	ds_write_b32 v17, v1 offset:148
	s_and_b64 exec, exec, vcc
	s_cbranch_execz .LBB46_50
; %bb.44:
	s_movk_i32 s20, 0xb9
	v_cmp_gt_u32_e32 vcc, s20, v0
	ds_write_b32 v17, v1 offset:296
	s_and_b64 exec, exec, vcc
	s_cbranch_execz .LBB46_50
; %bb.45:
	s_movk_i32 s20, 0x94
	v_mov_b32_e32 v1, 0
	v_cmp_gt_u32_e32 vcc, s20, v0
	ds_write_b32 v17, v1 offset:444
	s_and_b64 exec, exec, vcc
	s_cbranch_execz .LBB46_50
; %bb.46:
	s_movk_i32 s20, 0x6f
	v_cmp_gt_u32_e32 vcc, s20, v0
	ds_write_b32 v17, v1 offset:592
	s_and_b64 exec, exec, vcc
	s_cbranch_execz .LBB46_50
; %bb.47:
	s_movk_i32 s20, 0x4a
	v_mov_b32_e32 v1, 0
	v_cmp_gt_u32_e32 vcc, s20, v0
	ds_write_b32 v17, v1 offset:740
	s_and_b64 exec, exec, vcc
	s_cbranch_execz .LBB46_50
; %bb.48:
	v_cmp_gt_u32_e32 vcc, 37, v0
	ds_write_b32 v17, v1 offset:888
	s_and_b64 exec, exec, vcc
; %bb.49:
	v_mov_b32_e32 v1, 0
	ds_write_b32 v17, v1 offset:1036
.LBB46_50:
	s_or_b64 exec, exec, s[18:19]
	s_movk_i32 s18, 0x7fff
	v_cmp_ne_u16_e32 vcc, s18, v19
	v_mov_b32_e32 v1, 0x80
	v_cndmask_b32_sdwa v1, v1, v19, vcc dst_sel:DWORD dst_unused:UNUSED_PAD src0_sel:DWORD src1_sel:BYTE_1
	v_mov_b32_e32 v2, 7
	v_mov_b32_e32 v3, 2
	v_and_b32_sdwa v2, v1, v2 dst_sel:DWORD dst_unused:UNUSED_PAD src0_sel:WORD_0 src1_sel:DWORD
	v_lshrrev_b32_sdwa v1, v3, v1 dst_sel:DWORD dst_unused:UNUSED_PAD src0_sel:DWORD src1_sel:WORD_0
	v_mad_u32_u24 v2, v2, 37, v0
	v_and_b32_e32 v1, 2, v1
	v_lshl_or_b32 v21, v2, 2, v1
	ds_read_u16 v22, v21
	s_waitcnt lgkmcnt(0)
	v_add_u16_e32 v1, 1, v22
	ds_write_b16 v21, v1
	s_waitcnt lgkmcnt(0)
	; wave barrier
	ds_read2_b64 v[5:8], v15 offset1:1
	ds_read2_b64 v[1:4], v15 offset0:2 offset1:3
	s_waitcnt lgkmcnt(1)
	v_add_u32_e32 v23, v6, v5
	v_add3_u32 v23, v23, v7, v8
	s_waitcnt lgkmcnt(0)
	v_add3_u32 v23, v23, v1, v2
	v_add3_u32 v4, v23, v3, v4
	s_nop 1
	v_mov_b32_dpp v23, v4 row_shr:1 row_mask:0xf bank_mask:0xf
	v_cndmask_b32_e64 v23, v23, 0, s[14:15]
	v_add_u32_e32 v4, v23, v4
	s_nop 1
	v_mov_b32_dpp v23, v4 row_shr:2 row_mask:0xf bank_mask:0xf
	v_cndmask_b32_e64 v23, 0, v23, s[12:13]
	v_add_u32_e32 v4, v4, v23
	s_nop 1
	v_mov_b32_dpp v23, v4 row_shr:4 row_mask:0xf bank_mask:0xf
	v_cndmask_b32_e64 v23, 0, v23, s[10:11]
	v_add_u32_e32 v4, v4, v23
	s_nop 1
	v_mov_b32_dpp v23, v4 row_shr:8 row_mask:0xf bank_mask:0xf
	v_cndmask_b32_e64 v23, 0, v23, s[8:9]
	v_add_u32_e32 v4, v4, v23
	s_nop 1
	v_mov_b32_dpp v23, v4 row_bcast:15 row_mask:0xf bank_mask:0xf
	v_cndmask_b32_e64 v23, v23, 0, s[6:7]
	v_add_u32_e32 v4, v4, v23
	s_nop 1
	v_mov_b32_dpp v23, v4 row_bcast:31 row_mask:0xf bank_mask:0xf
	v_cndmask_b32_e64 v23, 0, v23, s[4:5]
	v_add_u32_e32 v4, v4, v23
	s_and_saveexec_b64 s[18:19], s[2:3]
; %bb.51:
	v_mov_b32_e32 v23, 0
	ds_write_b32 v23, v4 offset:1184
; %bb.52:
	s_or_b64 exec, exec, s[18:19]
	ds_bpermute_b32 v23, v16, v4
	v_mov_b32_e32 v4, 0
	s_waitcnt lgkmcnt(0)
	; wave barrier
	ds_read_b32 v24, v4 offset:1184
	v_cndmask_b32_e64 v23, v23, 0, s[0:1]
	s_waitcnt lgkmcnt(0)
	v_lshl_add_u32 v23, v24, 16, v23
	v_add_u32_e32 v24, v23, v5
	v_add_u32_e32 v5, v24, v6
	;; [unrolled: 1-line block ×7, first 2 shown]
	ds_write2_b64 v15, v[23:24], v[5:6] offset1:1
	ds_write2_b64 v15, v[7:8], v[1:2] offset0:2 offset1:3
	s_waitcnt lgkmcnt(0)
	; wave barrier
	ds_read_u16 v1, v21
	v_and_b32_e32 v2, 0xffff, v22
	s_waitcnt lgkmcnt(0)
	; wave barrier
	v_add_lshl_u32 v1, v1, v2, 1
	ds_write_b16 v1, v19
	v_add_u32_e32 v1, v1, v1
	s_waitcnt lgkmcnt(0)
	; wave barrier
	ds_read_u16 v8, v14
	s_waitcnt lgkmcnt(0)
	; wave barrier
	ds_write_b32 v1, v20
	s_waitcnt lgkmcnt(0)
	; wave barrier
	ds_read_b32 v18, v18
	s_waitcnt lgkmcnt(0)
	; wave barrier
	s_and_saveexec_b64 s[18:19], s[16:17]
	s_cbranch_execz .LBB46_61
; %bb.53:
	s_movk_i32 s16, 0x103
	v_cmp_gt_u32_e32 vcc, s16, v0
	ds_write_b32 v17, v4
	s_and_b64 exec, exec, vcc
	s_cbranch_execz .LBB46_61
; %bb.54:
	s_movk_i32 s16, 0xde
	v_mov_b32_e32 v1, 0
	v_cmp_gt_u32_e32 vcc, s16, v0
	ds_write_b32 v17, v1 offset:148
	s_and_b64 exec, exec, vcc
	s_cbranch_execz .LBB46_61
; %bb.55:
	s_movk_i32 s16, 0xb9
	v_cmp_gt_u32_e32 vcc, s16, v0
	ds_write_b32 v17, v1 offset:296
	s_and_b64 exec, exec, vcc
	s_cbranch_execz .LBB46_61
; %bb.56:
	s_movk_i32 s16, 0x94
	v_mov_b32_e32 v1, 0
	v_cmp_gt_u32_e32 vcc, s16, v0
	ds_write_b32 v17, v1 offset:444
	s_and_b64 exec, exec, vcc
	s_cbranch_execz .LBB46_61
; %bb.57:
	s_movk_i32 s16, 0x6f
	v_cmp_gt_u32_e32 vcc, s16, v0
	ds_write_b32 v17, v1 offset:592
	s_and_b64 exec, exec, vcc
	s_cbranch_execz .LBB46_61
; %bb.58:
	s_movk_i32 s16, 0x4a
	v_mov_b32_e32 v1, 0
	v_cmp_gt_u32_e32 vcc, s16, v0
	ds_write_b32 v17, v1 offset:740
	s_and_b64 exec, exec, vcc
	s_cbranch_execz .LBB46_61
; %bb.59:
	v_cmp_gt_u32_e32 vcc, 37, v0
	ds_write_b32 v17, v1 offset:888
	s_and_b64 exec, exec, vcc
; %bb.60:
	v_mov_b32_e32 v1, 0
	ds_write_b32 v17, v1 offset:1036
.LBB46_61:
	s_or_b64 exec, exec, s[18:19]
	s_movk_i32 s16, 0x7fff
	v_lshrrev_b16_e32 v1, 12, v8
	v_cmp_ne_u16_e32 vcc, s16, v8
	v_cndmask_b32_e32 v1, 8, v1, vcc
	v_mov_b32_e32 v2, 7
	v_and_b32_sdwa v2, v1, v2 dst_sel:DWORD dst_unused:UNUSED_PAD src0_sel:WORD_0 src1_sel:DWORD
	v_mad_u32_u24 v0, v2, 37, v0
	v_mov_b32_e32 v2, 2
	v_lshrrev_b32_sdwa v1, v2, v1 dst_sel:DWORD dst_unused:UNUSED_PAD src0_sel:DWORD src1_sel:WORD_0
	v_and_b32_e32 v1, 2, v1
	v_lshl_or_b32 v17, v0, 2, v1
	ds_read_u16 v19, v17
	s_waitcnt lgkmcnt(0)
	v_add_u16_e32 v0, 1, v19
	ds_write_b16 v17, v0
	s_waitcnt lgkmcnt(0)
	; wave barrier
	ds_read2_b64 v[4:7], v15 offset1:1
	ds_read2_b64 v[0:3], v15 offset0:2 offset1:3
	s_waitcnt lgkmcnt(1)
	v_add_u32_e32 v20, v5, v4
	v_add3_u32 v20, v20, v6, v7
	s_waitcnt lgkmcnt(0)
	v_add3_u32 v20, v20, v0, v1
	v_add3_u32 v3, v20, v2, v3
	s_nop 1
	v_mov_b32_dpp v20, v3 row_shr:1 row_mask:0xf bank_mask:0xf
	v_cndmask_b32_e64 v20, v20, 0, s[14:15]
	v_add_u32_e32 v3, v20, v3
	s_nop 1
	v_mov_b32_dpp v20, v3 row_shr:2 row_mask:0xf bank_mask:0xf
	v_cndmask_b32_e64 v20, 0, v20, s[12:13]
	v_add_u32_e32 v3, v3, v20
	;; [unrolled: 4-line block ×4, first 2 shown]
	s_nop 1
	v_mov_b32_dpp v20, v3 row_bcast:15 row_mask:0xf bank_mask:0xf
	v_cndmask_b32_e64 v20, v20, 0, s[6:7]
	v_add_u32_e32 v3, v3, v20
	s_nop 1
	v_mov_b32_dpp v20, v3 row_bcast:31 row_mask:0xf bank_mask:0xf
	v_cndmask_b32_e64 v20, 0, v20, s[4:5]
	v_add_u32_e32 v3, v3, v20
	s_and_saveexec_b64 s[4:5], s[2:3]
; %bb.62:
	v_mov_b32_e32 v20, 0
	ds_write_b32 v20, v3 offset:1184
; %bb.63:
	s_or_b64 exec, exec, s[4:5]
	ds_bpermute_b32 v3, v16, v3
	v_mov_b32_e32 v16, 0
	s_waitcnt lgkmcnt(0)
	; wave barrier
	ds_read_b32 v16, v16 offset:1184
	v_cndmask_b32_e64 v3, v3, 0, s[0:1]
	s_waitcnt lgkmcnt(0)
	v_lshl_add_u32 v3, v16, 16, v3
	v_add_u32_e32 v4, v3, v4
	v_add_u32_e32 v5, v4, v5
	;; [unrolled: 1-line block ×7, first 2 shown]
	ds_write2_b64 v15, v[3:4], v[5:6] offset1:1
	ds_write2_b64 v15, v[20:21], v[0:1] offset0:2 offset1:3
	s_waitcnt lgkmcnt(0)
	; wave barrier
	ds_read_u16 v0, v17
	v_and_b32_e32 v1, 0xffff, v19
	s_waitcnt lgkmcnt(0)
	; wave barrier
	v_add_lshl_u32 v0, v0, v1, 1
	ds_write_b16 v0, v8
	s_waitcnt lgkmcnt(0)
	; wave barrier
	ds_read_u16 v2, v14
	v_add_u32_e32 v0, v0, v0
	s_waitcnt lgkmcnt(0)
	; wave barrier
	ds_write_b32 v0, v18
	s_waitcnt lgkmcnt(0)
	; wave barrier
.LBB46_64:
	v_add_u32_e32 v0, v14, v13
	ds_read_b32 v0, v0
	v_mov_b32_e32 v1, 0xffff8000
	v_cmp_lt_i16_e32 vcc, -1, v2
	v_cndmask_b32_e64 v1, v1, -1, vcc
	v_xor_b32_e32 v1, v1, v2
	global_store_short v[9:10], v1, off
	s_waitcnt lgkmcnt(0)
	global_store_dword v[11:12], v0, off
	s_endpgm
	.section	.rodata,"a",@progbits
	.p2align	6, 0x0
	.amdhsa_kernel _Z21sort_key_value_kernelILj37ELj1ELb0ELb0E6__halfiEvPT3_PT4_jj
		.amdhsa_group_segment_fixed_size 1200
		.amdhsa_private_segment_fixed_size 0
		.amdhsa_kernarg_size 24
		.amdhsa_user_sgpr_count 6
		.amdhsa_user_sgpr_private_segment_buffer 1
		.amdhsa_user_sgpr_dispatch_ptr 0
		.amdhsa_user_sgpr_queue_ptr 0
		.amdhsa_user_sgpr_kernarg_segment_ptr 1
		.amdhsa_user_sgpr_dispatch_id 0
		.amdhsa_user_sgpr_flat_scratch_init 0
		.amdhsa_user_sgpr_private_segment_size 0
		.amdhsa_uses_dynamic_stack 0
		.amdhsa_system_sgpr_private_segment_wavefront_offset 0
		.amdhsa_system_sgpr_workgroup_id_x 1
		.amdhsa_system_sgpr_workgroup_id_y 0
		.amdhsa_system_sgpr_workgroup_id_z 0
		.amdhsa_system_sgpr_workgroup_info 0
		.amdhsa_system_vgpr_workitem_id 0
		.amdhsa_next_free_vgpr 27
		.amdhsa_next_free_sgpr 42
		.amdhsa_reserve_vcc 1
		.amdhsa_reserve_flat_scratch 0
		.amdhsa_float_round_mode_32 0
		.amdhsa_float_round_mode_16_64 0
		.amdhsa_float_denorm_mode_32 3
		.amdhsa_float_denorm_mode_16_64 3
		.amdhsa_dx10_clamp 1
		.amdhsa_ieee_mode 1
		.amdhsa_fp16_overflow 0
		.amdhsa_exception_fp_ieee_invalid_op 0
		.amdhsa_exception_fp_denorm_src 0
		.amdhsa_exception_fp_ieee_div_zero 0
		.amdhsa_exception_fp_ieee_overflow 0
		.amdhsa_exception_fp_ieee_underflow 0
		.amdhsa_exception_fp_ieee_inexact 0
		.amdhsa_exception_int_div_zero 0
	.end_amdhsa_kernel
	.section	.text._Z21sort_key_value_kernelILj37ELj1ELb0ELb0E6__halfiEvPT3_PT4_jj,"axG",@progbits,_Z21sort_key_value_kernelILj37ELj1ELb0ELb0E6__halfiEvPT3_PT4_jj,comdat
.Lfunc_end46:
	.size	_Z21sort_key_value_kernelILj37ELj1ELb0ELb0E6__halfiEvPT3_PT4_jj, .Lfunc_end46-_Z21sort_key_value_kernelILj37ELj1ELb0ELb0E6__halfiEvPT3_PT4_jj
                                        ; -- End function
	.set _Z21sort_key_value_kernelILj37ELj1ELb0ELb0E6__halfiEvPT3_PT4_jj.num_vgpr, 27
	.set _Z21sort_key_value_kernelILj37ELj1ELb0ELb0E6__halfiEvPT3_PT4_jj.num_agpr, 0
	.set _Z21sort_key_value_kernelILj37ELj1ELb0ELb0E6__halfiEvPT3_PT4_jj.numbered_sgpr, 42
	.set _Z21sort_key_value_kernelILj37ELj1ELb0ELb0E6__halfiEvPT3_PT4_jj.num_named_barrier, 0
	.set _Z21sort_key_value_kernelILj37ELj1ELb0ELb0E6__halfiEvPT3_PT4_jj.private_seg_size, 0
	.set _Z21sort_key_value_kernelILj37ELj1ELb0ELb0E6__halfiEvPT3_PT4_jj.uses_vcc, 1
	.set _Z21sort_key_value_kernelILj37ELj1ELb0ELb0E6__halfiEvPT3_PT4_jj.uses_flat_scratch, 0
	.set _Z21sort_key_value_kernelILj37ELj1ELb0ELb0E6__halfiEvPT3_PT4_jj.has_dyn_sized_stack, 0
	.set _Z21sort_key_value_kernelILj37ELj1ELb0ELb0E6__halfiEvPT3_PT4_jj.has_recursion, 0
	.set _Z21sort_key_value_kernelILj37ELj1ELb0ELb0E6__halfiEvPT3_PT4_jj.has_indirect_call, 0
	.section	.AMDGPU.csdata,"",@progbits
; Kernel info:
; codeLenInByte = 3868
; TotalNumSgprs: 46
; NumVgprs: 27
; ScratchSize: 0
; MemoryBound: 0
; FloatMode: 240
; IeeeMode: 1
; LDSByteSize: 1200 bytes/workgroup (compile time only)
; SGPRBlocks: 5
; VGPRBlocks: 6
; NumSGPRsForWavesPerEU: 46
; NumVGPRsForWavesPerEU: 27
; Occupancy: 9
; WaveLimiterHint : 0
; COMPUTE_PGM_RSRC2:SCRATCH_EN: 0
; COMPUTE_PGM_RSRC2:USER_SGPR: 6
; COMPUTE_PGM_RSRC2:TRAP_HANDLER: 0
; COMPUTE_PGM_RSRC2:TGID_X_EN: 1
; COMPUTE_PGM_RSRC2:TGID_Y_EN: 0
; COMPUTE_PGM_RSRC2:TGID_Z_EN: 0
; COMPUTE_PGM_RSRC2:TIDIG_COMP_CNT: 0
	.section	.text._Z21sort_key_value_kernelILj37ELj1ELb0ELb0E12hip_bfloat16iEvPT3_PT4_jj,"axG",@progbits,_Z21sort_key_value_kernelILj37ELj1ELb0ELb0E12hip_bfloat16iEvPT3_PT4_jj,comdat
	.protected	_Z21sort_key_value_kernelILj37ELj1ELb0ELb0E12hip_bfloat16iEvPT3_PT4_jj ; -- Begin function _Z21sort_key_value_kernelILj37ELj1ELb0ELb0E12hip_bfloat16iEvPT3_PT4_jj
	.globl	_Z21sort_key_value_kernelILj37ELj1ELb0ELb0E12hip_bfloat16iEvPT3_PT4_jj
	.p2align	8
	.type	_Z21sort_key_value_kernelILj37ELj1ELb0ELb0E12hip_bfloat16iEvPT3_PT4_jj,@function
_Z21sort_key_value_kernelILj37ELj1ELb0ELb0E12hip_bfloat16iEvPT3_PT4_jj: ; @_Z21sort_key_value_kernelILj37ELj1ELb0ELb0E12hip_bfloat16iEvPT3_PT4_jj
; %bb.0:
	s_load_dwordx4 s[0:3], s[4:5], 0x0
	s_load_dwordx2 s[38:39], s[4:5], 0x10
	s_mul_i32 s4, s6, 37
	s_mov_b32 s5, 0
	s_lshl_b64 s[6:7], s[4:5], 1
	s_waitcnt lgkmcnt(0)
	s_add_u32 s34, s0, s6
	s_addc_u32 s35, s1, s7
	v_lshlrev_b32_e32 v13, 1, v0
	global_load_ushort v1, v13, s[34:35]
	s_lshl_b64 s[0:1], s[4:5], 2
	s_add_u32 s36, s2, s0
	s_addc_u32 s37, s3, s1
	v_lshlrev_b32_e32 v17, 2, v0
	global_load_dword v18, v17, s[36:37]
	v_mbcnt_lo_u32_b32 v2, -1, 0
	s_cmp_eq_u32 s38, 0
	s_movk_i32 s0, 0x128
	v_mbcnt_hi_u32_b32 v2, -1, v2
	s_cselect_b64 s[18:19], -1, 0
	s_cmp_eq_u32 s39, 16
	v_cmp_gt_u32_e64 s[16:17], s0, v0
	v_subrev_co_u32_e64 v5, s[0:1], 1, v2
	v_and_b32_e32 v6, 64, v2
	s_cselect_b64 s[20:21], -1, 0
	v_cmp_lt_i32_e32 vcc, v5, v6
	s_and_b64 s[18:19], s[18:19], s[20:21]
	v_mov_b32_e32 v10, 0xffff8000
	v_and_b32_e32 v3, 15, v2
	v_and_b32_e32 v4, 16, v2
	v_cmp_lt_u32_e64 s[4:5], 31, v2
	v_cndmask_b32_e32 v2, v5, v2, vcc
	s_and_b64 vcc, exec, s[18:19]
	s_movk_i32 s6, 0xffe2
	v_lshlrev_b32_e32 v15, 5, v0
	v_lshlrev_b32_e32 v16, 2, v2
	v_mov_b32_e32 v9, 0
	v_cmp_eq_u32_e64 s[2:3], 36, v0
	v_mad_i32_i24 v14, v0, s6, v15
	v_cmp_eq_u32_e64 s[14:15], 0, v3
	v_cmp_lt_u32_e64 s[12:13], 1, v3
	v_cmp_lt_u32_e64 s[10:11], 3, v3
	;; [unrolled: 1-line block ×3, first 2 shown]
	v_cmp_eq_u32_e64 s[6:7], 0, v4
	v_mov_b32_e32 v11, s35
	v_mov_b32_e32 v12, s37
	s_waitcnt vmcnt(1)
	v_cmp_lt_i16_e64 s[18:19], -1, v1
	v_cndmask_b32_e64 v2, -1, v10, s[18:19]
	v_xor_b32_e32 v19, v2, v1
	s_cbranch_vccnz .LBB47_16
; %bb.1:
	s_movk_i32 s18, 0x103
	s_movk_i32 s20, 0xde
	;; [unrolled: 1-line block ×6, first 2 shown]
	s_sub_i32 s33, s39, s38
	v_cmp_gt_u32_e64 s[18:19], s18, v0
	v_cmp_gt_u32_e64 s[20:21], s20, v0
	;; [unrolled: 1-line block ×7, first 2 shown]
	v_mov_b32_e32 v21, s33
	s_movk_i32 s33, 0x7fff
	s_waitcnt vmcnt(0)
	v_mov_b32_e32 v3, v18
	v_mov_b32_e32 v2, v19
	s_branch .LBB47_3
.LBB47_2:                               ;   in Loop: Header=BB47_3 Depth=1
	s_andn2_b64 vcc, exec, s[40:41]
	s_cbranch_vccz .LBB47_17
.LBB47_3:                               ; =>This Inner Loop Header: Depth=1
	v_mov_b32_e32 v22, v2
	v_mov_b32_e32 v20, v3
	s_and_saveexec_b64 s[40:41], s[16:17]
	s_cbranch_execz .LBB47_12
; %bb.4:                                ;   in Loop: Header=BB47_3 Depth=1
	ds_write_b32 v17, v9
	s_and_b64 exec, exec, s[18:19]
	s_cbranch_execz .LBB47_12
; %bb.5:                                ;   in Loop: Header=BB47_3 Depth=1
	ds_write_b32 v17, v9 offset:148
	s_and_b64 exec, exec, s[20:21]
	s_cbranch_execz .LBB47_12
; %bb.6:                                ;   in Loop: Header=BB47_3 Depth=1
	ds_write_b32 v17, v9 offset:296
	;; [unrolled: 4-line block ×5, first 2 shown]
	s_and_b64 exec, exec, s[28:29]
	s_cbranch_execz .LBB47_12
; %bb.10:                               ;   in Loop: Header=BB47_3 Depth=1
	ds_write_b32 v17, v9 offset:888
	s_and_b64 exec, exec, s[30:31]
; %bb.11:                               ;   in Loop: Header=BB47_3 Depth=1
	ds_write_b32 v17, v9 offset:1036
.LBB47_12:                              ;   in Loop: Header=BB47_3 Depth=1
	s_or_b64 exec, exec, s[40:41]
	v_cmp_ne_u16_e32 vcc, s33, v22
	v_cndmask_b32_e32 v2, v10, v22, vcc
	v_min_u32_e32 v1, 4, v21
	v_lshrrev_b32_sdwa v2, s38, v2 dst_sel:DWORD dst_unused:UNUSED_PAD src0_sel:DWORD src1_sel:WORD_0
	v_bfe_u32 v1, v2, 0, v1
	v_and_b32_e32 v2, 7, v1
	v_lshrrev_b32_e32 v1, 2, v1
	v_mad_u32_u24 v2, v2, 37, v0
	v_and_b32_e32 v1, 30, v1
	v_lshl_add_u32 v23, v2, 2, v1
	ds_read_u16 v24, v23
	s_waitcnt lgkmcnt(0)
	v_add_u16_e32 v1, 1, v24
	ds_write_b16 v23, v1
	s_waitcnt lgkmcnt(0)
	; wave barrier
	ds_read2_b64 v[5:8], v15 offset1:1
	ds_read2_b64 v[1:4], v15 offset0:2 offset1:3
	s_waitcnt lgkmcnt(1)
	v_add_u32_e32 v25, v6, v5
	v_add3_u32 v25, v25, v7, v8
	s_waitcnt lgkmcnt(0)
	v_add3_u32 v25, v25, v1, v2
	v_add3_u32 v4, v25, v3, v4
	s_nop 1
	v_mov_b32_dpp v25, v4 row_shr:1 row_mask:0xf bank_mask:0xf
	v_cndmask_b32_e64 v25, v25, 0, s[14:15]
	v_add_u32_e32 v4, v25, v4
	s_nop 1
	v_mov_b32_dpp v25, v4 row_shr:2 row_mask:0xf bank_mask:0xf
	v_cndmask_b32_e64 v25, 0, v25, s[12:13]
	v_add_u32_e32 v4, v4, v25
	;; [unrolled: 4-line block ×4, first 2 shown]
	s_nop 1
	v_mov_b32_dpp v25, v4 row_bcast:15 row_mask:0xf bank_mask:0xf
	v_cndmask_b32_e64 v25, v25, 0, s[6:7]
	v_add_u32_e32 v4, v4, v25
	s_nop 1
	v_mov_b32_dpp v25, v4 row_bcast:31 row_mask:0xf bank_mask:0xf
	v_cndmask_b32_e64 v25, 0, v25, s[4:5]
	v_add_u32_e32 v4, v4, v25
	s_and_saveexec_b64 s[40:41], s[2:3]
; %bb.13:                               ;   in Loop: Header=BB47_3 Depth=1
	ds_write_b32 v9, v4 offset:1184
; %bb.14:                               ;   in Loop: Header=BB47_3 Depth=1
	s_or_b64 exec, exec, s[40:41]
	ds_bpermute_b32 v4, v16, v4
	s_waitcnt lgkmcnt(0)
	; wave barrier
	ds_read_b32 v25, v9 offset:1184
	s_add_i32 s38, s38, 4
	v_cndmask_b32_e64 v4, v4, 0, s[0:1]
	s_cmp_ge_u32 s38, s39
	s_mov_b64 s[40:41], -1
	s_waitcnt lgkmcnt(0)
	v_lshl_add_u32 v4, v25, 16, v4
	v_add_u32_e32 v5, v4, v5
	v_add_u32_e32 v6, v5, v6
	;; [unrolled: 1-line block ×7, first 2 shown]
	ds_write2_b64 v15, v[4:5], v[6:7] offset1:1
	ds_write2_b64 v15, v[25:26], v[1:2] offset0:2 offset1:3
	s_waitcnt lgkmcnt(0)
	; wave barrier
	ds_read_u16 v1, v23
	v_and_b32_e32 v2, 0xffff, v24
	s_waitcnt lgkmcnt(0)
                                        ; implicit-def: $vgpr3
	v_add_lshl_u32 v1, v1, v2, 1
                                        ; implicit-def: $vgpr2
	s_cbranch_scc1 .LBB47_2
; %bb.15:                               ;   in Loop: Header=BB47_3 Depth=1
	v_add_u32_e32 v3, v1, v1
	; wave barrier
	ds_write_b16 v1, v22
	s_waitcnt lgkmcnt(0)
	; wave barrier
	ds_read_u16 v2, v14
	s_waitcnt lgkmcnt(0)
	; wave barrier
	ds_write_b32 v3, v20
	v_add_u32_e32 v3, v14, v13
	s_waitcnt lgkmcnt(0)
	; wave barrier
	ds_read_b32 v3, v3
	v_add_u32_e32 v21, -4, v21
	s_mov_b64 s[40:41], 0
	s_waitcnt lgkmcnt(0)
	; wave barrier
	s_branch .LBB47_2
.LBB47_16:
	s_mov_b64 s[18:19], -1
                                        ; implicit-def: $vgpr2
	s_branch .LBB47_18
.LBB47_17:
	; wave barrier
	ds_write_b16 v1, v22
	s_waitcnt lgkmcnt(0)
	; wave barrier
	ds_read_u16 v2, v14
	v_add_u32_e32 v1, v1, v1
	s_mov_b64 s[18:19], 0
	s_waitcnt lgkmcnt(0)
	; wave barrier
	ds_write_b32 v1, v20
	s_waitcnt lgkmcnt(0)
	; wave barrier
.LBB47_18:
	v_add_co_u32_e32 v9, vcc, s34, v13
	v_addc_co_u32_e32 v10, vcc, 0, v11, vcc
	v_add_co_u32_e32 v11, vcc, s36, v17
	v_addc_co_u32_e32 v12, vcc, 0, v12, vcc
	s_and_b64 vcc, exec, s[18:19]
	s_cbranch_vccz .LBB47_64
; %bb.19:
	s_and_saveexec_b64 s[18:19], s[16:17]
	s_cbranch_execz .LBB47_28
; %bb.20:
	s_movk_i32 s20, 0x103
	v_add_u32_e32 v1, v14, v13
	v_mov_b32_e32 v2, 0
	v_cmp_gt_u32_e32 vcc, s20, v0
	ds_write_b32 v1, v2
	s_and_b64 exec, exec, vcc
	s_cbranch_execz .LBB47_28
; %bb.21:
	s_movk_i32 s20, 0xde
	v_cmp_gt_u32_e32 vcc, s20, v0
	ds_write_b32 v1, v2 offset:148
	s_and_b64 exec, exec, vcc
	s_cbranch_execz .LBB47_28
; %bb.22:
	s_movk_i32 s20, 0xb9
	v_mov_b32_e32 v2, 0
	v_cmp_gt_u32_e32 vcc, s20, v0
	ds_write_b32 v1, v2 offset:296
	s_and_b64 exec, exec, vcc
	s_cbranch_execz .LBB47_28
; %bb.23:
	s_movk_i32 s20, 0x94
	v_cmp_gt_u32_e32 vcc, s20, v0
	ds_write_b32 v1, v2 offset:444
	s_and_b64 exec, exec, vcc
	s_cbranch_execz .LBB47_28
; %bb.24:
	s_movk_i32 s20, 0x6f
	v_mov_b32_e32 v2, 0
	v_cmp_gt_u32_e32 vcc, s20, v0
	ds_write_b32 v1, v2 offset:592
	s_and_b64 exec, exec, vcc
	s_cbranch_execz .LBB47_28
; %bb.25:
	s_movk_i32 s20, 0x4a
	v_cmp_gt_u32_e32 vcc, s20, v0
	ds_write_b32 v1, v2 offset:740
	s_and_b64 exec, exec, vcc
	s_cbranch_execz .LBB47_28
; %bb.26:
	v_mov_b32_e32 v2, 0
	v_cmp_gt_u32_e32 vcc, 37, v0
	ds_write_b32 v1, v2 offset:888
	s_and_b64 exec, exec, vcc
; %bb.27:
	ds_write_b32 v1, v2 offset:1036
.LBB47_28:
	s_or_b64 exec, exec, s[18:19]
	s_movk_i32 s18, 0x7fff
	v_mov_b32_e32 v1, 0xffff8000
	v_cmp_ne_u16_e32 vcc, s18, v19
	v_cndmask_b32_e32 v1, v1, v19, vcc
	v_mov_b32_e32 v2, 7
	v_mov_b32_e32 v3, 2
	v_and_b32_sdwa v2, v1, v2 dst_sel:DWORD dst_unused:UNUSED_PAD src0_sel:WORD_0 src1_sel:DWORD
	v_lshrrev_b32_sdwa v1, v3, v1 dst_sel:DWORD dst_unused:UNUSED_PAD src0_sel:DWORD src1_sel:WORD_0
	v_mad_u32_u24 v2, v2, 37, v0
	v_and_b32_e32 v1, 2, v1
	v_lshl_or_b32 v20, v2, 2, v1
	ds_read_u16 v21, v20
	s_waitcnt lgkmcnt(0)
	v_add_u16_e32 v1, 1, v21
	ds_write_b16 v20, v1
	s_waitcnt lgkmcnt(0)
	; wave barrier
	ds_read2_b64 v[5:8], v15 offset1:1
	ds_read2_b64 v[1:4], v15 offset0:2 offset1:3
	s_waitcnt lgkmcnt(1)
	v_add_u32_e32 v22, v6, v5
	v_add3_u32 v22, v22, v7, v8
	s_waitcnt lgkmcnt(0)
	v_add3_u32 v22, v22, v1, v2
	v_add3_u32 v4, v22, v3, v4
	s_nop 1
	v_mov_b32_dpp v22, v4 row_shr:1 row_mask:0xf bank_mask:0xf
	v_cndmask_b32_e64 v22, v22, 0, s[14:15]
	v_add_u32_e32 v4, v22, v4
	s_nop 1
	v_mov_b32_dpp v22, v4 row_shr:2 row_mask:0xf bank_mask:0xf
	v_cndmask_b32_e64 v22, 0, v22, s[12:13]
	v_add_u32_e32 v4, v4, v22
	;; [unrolled: 4-line block ×4, first 2 shown]
	s_nop 1
	v_mov_b32_dpp v22, v4 row_bcast:15 row_mask:0xf bank_mask:0xf
	v_cndmask_b32_e64 v22, v22, 0, s[6:7]
	v_add_u32_e32 v4, v4, v22
	s_nop 1
	v_mov_b32_dpp v22, v4 row_bcast:31 row_mask:0xf bank_mask:0xf
	v_cndmask_b32_e64 v22, 0, v22, s[4:5]
	v_add_u32_e32 v4, v4, v22
	s_and_saveexec_b64 s[18:19], s[2:3]
; %bb.29:
	v_mov_b32_e32 v22, 0
	ds_write_b32 v22, v4 offset:1184
; %bb.30:
	s_or_b64 exec, exec, s[18:19]
	ds_bpermute_b32 v22, v16, v4
	v_mov_b32_e32 v4, 0
	s_waitcnt lgkmcnt(0)
	; wave barrier
	ds_read_b32 v23, v4 offset:1184
	v_cndmask_b32_e64 v22, v22, 0, s[0:1]
	s_waitcnt lgkmcnt(0)
	v_lshl_add_u32 v22, v23, 16, v22
	v_add_u32_e32 v23, v22, v5
	v_add_u32_e32 v5, v23, v6
	;; [unrolled: 1-line block ×7, first 2 shown]
	ds_write2_b64 v15, v[22:23], v[5:6] offset1:1
	ds_write2_b64 v15, v[7:8], v[1:2] offset0:2 offset1:3
	s_waitcnt lgkmcnt(0)
	; wave barrier
	ds_read_u16 v1, v20
	v_and_b32_e32 v2, 0xffff, v21
	s_waitcnt lgkmcnt(0)
	; wave barrier
	v_add_lshl_u32 v1, v1, v2, 1
	ds_write_b16 v1, v19
	v_add_u32_e32 v1, v1, v1
	s_waitcnt lgkmcnt(0)
	; wave barrier
	ds_read_u16 v19, v14
	s_waitcnt vmcnt(0) lgkmcnt(0)
	; wave barrier
	ds_write_b32 v1, v18
	v_add_u32_e32 v18, v14, v13
	s_waitcnt lgkmcnt(0)
	; wave barrier
	ds_read_b32 v20, v18
	s_waitcnt lgkmcnt(0)
	; wave barrier
	s_and_saveexec_b64 s[18:19], s[16:17]
	s_cbranch_execz .LBB47_39
; %bb.31:
	s_movk_i32 s20, 0x103
	v_cmp_gt_u32_e32 vcc, s20, v0
	ds_write_b32 v17, v4
	s_and_b64 exec, exec, vcc
	s_cbranch_execz .LBB47_39
; %bb.32:
	s_movk_i32 s20, 0xde
	v_mov_b32_e32 v1, 0
	v_cmp_gt_u32_e32 vcc, s20, v0
	ds_write_b32 v17, v1 offset:148
	s_and_b64 exec, exec, vcc
	s_cbranch_execz .LBB47_39
; %bb.33:
	s_movk_i32 s20, 0xb9
	v_cmp_gt_u32_e32 vcc, s20, v0
	ds_write_b32 v17, v1 offset:296
	s_and_b64 exec, exec, vcc
	s_cbranch_execz .LBB47_39
; %bb.34:
	s_movk_i32 s20, 0x94
	v_mov_b32_e32 v1, 0
	v_cmp_gt_u32_e32 vcc, s20, v0
	ds_write_b32 v17, v1 offset:444
	s_and_b64 exec, exec, vcc
	s_cbranch_execz .LBB47_39
; %bb.35:
	s_movk_i32 s20, 0x6f
	v_cmp_gt_u32_e32 vcc, s20, v0
	ds_write_b32 v17, v1 offset:592
	s_and_b64 exec, exec, vcc
	s_cbranch_execz .LBB47_39
; %bb.36:
	s_movk_i32 s20, 0x4a
	v_mov_b32_e32 v1, 0
	v_cmp_gt_u32_e32 vcc, s20, v0
	ds_write_b32 v17, v1 offset:740
	s_and_b64 exec, exec, vcc
	s_cbranch_execz .LBB47_39
; %bb.37:
	v_cmp_gt_u32_e32 vcc, 37, v0
	ds_write_b32 v17, v1 offset:888
	s_and_b64 exec, exec, vcc
; %bb.38:
	v_mov_b32_e32 v1, 0
	ds_write_b32 v17, v1 offset:1036
.LBB47_39:
	s_or_b64 exec, exec, s[18:19]
	s_movk_i32 s18, 0x7fff
	v_lshrrev_b16_e32 v1, 4, v19
	v_mov_b32_e32 v2, 0x800
	v_cmp_ne_u16_e32 vcc, s18, v19
	v_cndmask_b32_e32 v1, v2, v1, vcc
	v_mov_b32_e32 v2, 7
	v_mov_b32_e32 v3, 2
	v_and_b32_sdwa v2, v1, v2 dst_sel:DWORD dst_unused:UNUSED_PAD src0_sel:WORD_0 src1_sel:DWORD
	v_lshrrev_b32_sdwa v1, v3, v1 dst_sel:DWORD dst_unused:UNUSED_PAD src0_sel:DWORD src1_sel:WORD_0
	v_mad_u32_u24 v2, v2, 37, v0
	v_and_b32_e32 v1, 2, v1
	v_lshl_or_b32 v21, v2, 2, v1
	ds_read_u16 v22, v21
	s_waitcnt lgkmcnt(0)
	v_add_u16_e32 v1, 1, v22
	ds_write_b16 v21, v1
	s_waitcnt lgkmcnt(0)
	; wave barrier
	ds_read2_b64 v[5:8], v15 offset1:1
	ds_read2_b64 v[1:4], v15 offset0:2 offset1:3
	s_waitcnt lgkmcnt(1)
	v_add_u32_e32 v23, v6, v5
	v_add3_u32 v23, v23, v7, v8
	s_waitcnt lgkmcnt(0)
	v_add3_u32 v23, v23, v1, v2
	v_add3_u32 v4, v23, v3, v4
	s_nop 1
	v_mov_b32_dpp v23, v4 row_shr:1 row_mask:0xf bank_mask:0xf
	v_cndmask_b32_e64 v23, v23, 0, s[14:15]
	v_add_u32_e32 v4, v23, v4
	s_nop 1
	v_mov_b32_dpp v23, v4 row_shr:2 row_mask:0xf bank_mask:0xf
	v_cndmask_b32_e64 v23, 0, v23, s[12:13]
	v_add_u32_e32 v4, v4, v23
	;; [unrolled: 4-line block ×4, first 2 shown]
	s_nop 1
	v_mov_b32_dpp v23, v4 row_bcast:15 row_mask:0xf bank_mask:0xf
	v_cndmask_b32_e64 v23, v23, 0, s[6:7]
	v_add_u32_e32 v4, v4, v23
	s_nop 1
	v_mov_b32_dpp v23, v4 row_bcast:31 row_mask:0xf bank_mask:0xf
	v_cndmask_b32_e64 v23, 0, v23, s[4:5]
	v_add_u32_e32 v4, v4, v23
	s_and_saveexec_b64 s[18:19], s[2:3]
; %bb.40:
	v_mov_b32_e32 v23, 0
	ds_write_b32 v23, v4 offset:1184
; %bb.41:
	s_or_b64 exec, exec, s[18:19]
	ds_bpermute_b32 v23, v16, v4
	v_mov_b32_e32 v4, 0
	s_waitcnt lgkmcnt(0)
	; wave barrier
	ds_read_b32 v24, v4 offset:1184
	v_cndmask_b32_e64 v23, v23, 0, s[0:1]
	s_waitcnt lgkmcnt(0)
	v_lshl_add_u32 v23, v24, 16, v23
	v_add_u32_e32 v24, v23, v5
	v_add_u32_e32 v5, v24, v6
	;; [unrolled: 1-line block ×7, first 2 shown]
	ds_write2_b64 v15, v[23:24], v[5:6] offset1:1
	ds_write2_b64 v15, v[7:8], v[1:2] offset0:2 offset1:3
	s_waitcnt lgkmcnt(0)
	; wave barrier
	ds_read_u16 v1, v21
	v_and_b32_e32 v2, 0xffff, v22
	s_waitcnt lgkmcnt(0)
	; wave barrier
	v_add_lshl_u32 v1, v1, v2, 1
	ds_write_b16 v1, v19
	v_add_u32_e32 v1, v1, v1
	s_waitcnt lgkmcnt(0)
	; wave barrier
	ds_read_u16 v19, v14
	s_waitcnt lgkmcnt(0)
	; wave barrier
	ds_write_b32 v1, v20
	s_waitcnt lgkmcnt(0)
	; wave barrier
	ds_read_b32 v20, v18
	s_waitcnt lgkmcnt(0)
	; wave barrier
	s_and_saveexec_b64 s[18:19], s[16:17]
	s_cbranch_execz .LBB47_50
; %bb.42:
	s_movk_i32 s20, 0x103
	v_cmp_gt_u32_e32 vcc, s20, v0
	ds_write_b32 v17, v4
	s_and_b64 exec, exec, vcc
	s_cbranch_execz .LBB47_50
; %bb.43:
	s_movk_i32 s20, 0xde
	v_mov_b32_e32 v1, 0
	v_cmp_gt_u32_e32 vcc, s20, v0
	ds_write_b32 v17, v1 offset:148
	s_and_b64 exec, exec, vcc
	s_cbranch_execz .LBB47_50
; %bb.44:
	s_movk_i32 s20, 0xb9
	v_cmp_gt_u32_e32 vcc, s20, v0
	ds_write_b32 v17, v1 offset:296
	s_and_b64 exec, exec, vcc
	s_cbranch_execz .LBB47_50
; %bb.45:
	s_movk_i32 s20, 0x94
	v_mov_b32_e32 v1, 0
	v_cmp_gt_u32_e32 vcc, s20, v0
	ds_write_b32 v17, v1 offset:444
	s_and_b64 exec, exec, vcc
	s_cbranch_execz .LBB47_50
; %bb.46:
	s_movk_i32 s20, 0x6f
	v_cmp_gt_u32_e32 vcc, s20, v0
	ds_write_b32 v17, v1 offset:592
	s_and_b64 exec, exec, vcc
	s_cbranch_execz .LBB47_50
; %bb.47:
	s_movk_i32 s20, 0x4a
	v_mov_b32_e32 v1, 0
	v_cmp_gt_u32_e32 vcc, s20, v0
	ds_write_b32 v17, v1 offset:740
	s_and_b64 exec, exec, vcc
	s_cbranch_execz .LBB47_50
; %bb.48:
	v_cmp_gt_u32_e32 vcc, 37, v0
	ds_write_b32 v17, v1 offset:888
	s_and_b64 exec, exec, vcc
; %bb.49:
	v_mov_b32_e32 v1, 0
	ds_write_b32 v17, v1 offset:1036
.LBB47_50:
	s_or_b64 exec, exec, s[18:19]
	s_movk_i32 s18, 0x7fff
	v_cmp_ne_u16_e32 vcc, s18, v19
	v_mov_b32_e32 v1, 0x80
	v_cndmask_b32_sdwa v1, v1, v19, vcc dst_sel:DWORD dst_unused:UNUSED_PAD src0_sel:DWORD src1_sel:BYTE_1
	v_mov_b32_e32 v2, 7
	v_mov_b32_e32 v3, 2
	v_and_b32_sdwa v2, v1, v2 dst_sel:DWORD dst_unused:UNUSED_PAD src0_sel:WORD_0 src1_sel:DWORD
	v_lshrrev_b32_sdwa v1, v3, v1 dst_sel:DWORD dst_unused:UNUSED_PAD src0_sel:DWORD src1_sel:WORD_0
	v_mad_u32_u24 v2, v2, 37, v0
	v_and_b32_e32 v1, 2, v1
	v_lshl_or_b32 v21, v2, 2, v1
	ds_read_u16 v22, v21
	s_waitcnt lgkmcnt(0)
	v_add_u16_e32 v1, 1, v22
	ds_write_b16 v21, v1
	s_waitcnt lgkmcnt(0)
	; wave barrier
	ds_read2_b64 v[5:8], v15 offset1:1
	ds_read2_b64 v[1:4], v15 offset0:2 offset1:3
	s_waitcnt lgkmcnt(1)
	v_add_u32_e32 v23, v6, v5
	v_add3_u32 v23, v23, v7, v8
	s_waitcnt lgkmcnt(0)
	v_add3_u32 v23, v23, v1, v2
	v_add3_u32 v4, v23, v3, v4
	s_nop 1
	v_mov_b32_dpp v23, v4 row_shr:1 row_mask:0xf bank_mask:0xf
	v_cndmask_b32_e64 v23, v23, 0, s[14:15]
	v_add_u32_e32 v4, v23, v4
	s_nop 1
	v_mov_b32_dpp v23, v4 row_shr:2 row_mask:0xf bank_mask:0xf
	v_cndmask_b32_e64 v23, 0, v23, s[12:13]
	v_add_u32_e32 v4, v4, v23
	;; [unrolled: 4-line block ×4, first 2 shown]
	s_nop 1
	v_mov_b32_dpp v23, v4 row_bcast:15 row_mask:0xf bank_mask:0xf
	v_cndmask_b32_e64 v23, v23, 0, s[6:7]
	v_add_u32_e32 v4, v4, v23
	s_nop 1
	v_mov_b32_dpp v23, v4 row_bcast:31 row_mask:0xf bank_mask:0xf
	v_cndmask_b32_e64 v23, 0, v23, s[4:5]
	v_add_u32_e32 v4, v4, v23
	s_and_saveexec_b64 s[18:19], s[2:3]
; %bb.51:
	v_mov_b32_e32 v23, 0
	ds_write_b32 v23, v4 offset:1184
; %bb.52:
	s_or_b64 exec, exec, s[18:19]
	ds_bpermute_b32 v23, v16, v4
	v_mov_b32_e32 v4, 0
	s_waitcnt lgkmcnt(0)
	; wave barrier
	ds_read_b32 v24, v4 offset:1184
	v_cndmask_b32_e64 v23, v23, 0, s[0:1]
	s_waitcnt lgkmcnt(0)
	v_lshl_add_u32 v23, v24, 16, v23
	v_add_u32_e32 v24, v23, v5
	v_add_u32_e32 v5, v24, v6
	;; [unrolled: 1-line block ×7, first 2 shown]
	ds_write2_b64 v15, v[23:24], v[5:6] offset1:1
	ds_write2_b64 v15, v[7:8], v[1:2] offset0:2 offset1:3
	s_waitcnt lgkmcnt(0)
	; wave barrier
	ds_read_u16 v1, v21
	v_and_b32_e32 v2, 0xffff, v22
	s_waitcnt lgkmcnt(0)
	; wave barrier
	v_add_lshl_u32 v1, v1, v2, 1
	ds_write_b16 v1, v19
	v_add_u32_e32 v1, v1, v1
	s_waitcnt lgkmcnt(0)
	; wave barrier
	ds_read_u16 v8, v14
	s_waitcnt lgkmcnt(0)
	; wave barrier
	ds_write_b32 v1, v20
	s_waitcnt lgkmcnt(0)
	; wave barrier
	ds_read_b32 v18, v18
	s_waitcnt lgkmcnt(0)
	; wave barrier
	s_and_saveexec_b64 s[18:19], s[16:17]
	s_cbranch_execz .LBB47_61
; %bb.53:
	s_movk_i32 s16, 0x103
	v_cmp_gt_u32_e32 vcc, s16, v0
	ds_write_b32 v17, v4
	s_and_b64 exec, exec, vcc
	s_cbranch_execz .LBB47_61
; %bb.54:
	s_movk_i32 s16, 0xde
	v_mov_b32_e32 v1, 0
	v_cmp_gt_u32_e32 vcc, s16, v0
	ds_write_b32 v17, v1 offset:148
	s_and_b64 exec, exec, vcc
	s_cbranch_execz .LBB47_61
; %bb.55:
	s_movk_i32 s16, 0xb9
	v_cmp_gt_u32_e32 vcc, s16, v0
	ds_write_b32 v17, v1 offset:296
	s_and_b64 exec, exec, vcc
	s_cbranch_execz .LBB47_61
; %bb.56:
	s_movk_i32 s16, 0x94
	v_mov_b32_e32 v1, 0
	v_cmp_gt_u32_e32 vcc, s16, v0
	ds_write_b32 v17, v1 offset:444
	s_and_b64 exec, exec, vcc
	s_cbranch_execz .LBB47_61
; %bb.57:
	s_movk_i32 s16, 0x6f
	v_cmp_gt_u32_e32 vcc, s16, v0
	ds_write_b32 v17, v1 offset:592
	s_and_b64 exec, exec, vcc
	s_cbranch_execz .LBB47_61
; %bb.58:
	s_movk_i32 s16, 0x4a
	v_mov_b32_e32 v1, 0
	v_cmp_gt_u32_e32 vcc, s16, v0
	ds_write_b32 v17, v1 offset:740
	s_and_b64 exec, exec, vcc
	s_cbranch_execz .LBB47_61
; %bb.59:
	v_cmp_gt_u32_e32 vcc, 37, v0
	ds_write_b32 v17, v1 offset:888
	s_and_b64 exec, exec, vcc
; %bb.60:
	v_mov_b32_e32 v1, 0
	ds_write_b32 v17, v1 offset:1036
.LBB47_61:
	s_or_b64 exec, exec, s[18:19]
	s_movk_i32 s16, 0x7fff
	v_lshrrev_b16_e32 v1, 12, v8
	v_cmp_ne_u16_e32 vcc, s16, v8
	v_cndmask_b32_e32 v1, 8, v1, vcc
	v_mov_b32_e32 v2, 7
	v_and_b32_sdwa v2, v1, v2 dst_sel:DWORD dst_unused:UNUSED_PAD src0_sel:WORD_0 src1_sel:DWORD
	v_mad_u32_u24 v0, v2, 37, v0
	v_mov_b32_e32 v2, 2
	v_lshrrev_b32_sdwa v1, v2, v1 dst_sel:DWORD dst_unused:UNUSED_PAD src0_sel:DWORD src1_sel:WORD_0
	v_and_b32_e32 v1, 2, v1
	v_lshl_or_b32 v17, v0, 2, v1
	ds_read_u16 v19, v17
	s_waitcnt lgkmcnt(0)
	v_add_u16_e32 v0, 1, v19
	ds_write_b16 v17, v0
	s_waitcnt lgkmcnt(0)
	; wave barrier
	ds_read2_b64 v[4:7], v15 offset1:1
	ds_read2_b64 v[0:3], v15 offset0:2 offset1:3
	s_waitcnt lgkmcnt(1)
	v_add_u32_e32 v20, v5, v4
	v_add3_u32 v20, v20, v6, v7
	s_waitcnt lgkmcnt(0)
	v_add3_u32 v20, v20, v0, v1
	v_add3_u32 v3, v20, v2, v3
	s_nop 1
	v_mov_b32_dpp v20, v3 row_shr:1 row_mask:0xf bank_mask:0xf
	v_cndmask_b32_e64 v20, v20, 0, s[14:15]
	v_add_u32_e32 v3, v20, v3
	s_nop 1
	v_mov_b32_dpp v20, v3 row_shr:2 row_mask:0xf bank_mask:0xf
	v_cndmask_b32_e64 v20, 0, v20, s[12:13]
	v_add_u32_e32 v3, v3, v20
	;; [unrolled: 4-line block ×4, first 2 shown]
	s_nop 1
	v_mov_b32_dpp v20, v3 row_bcast:15 row_mask:0xf bank_mask:0xf
	v_cndmask_b32_e64 v20, v20, 0, s[6:7]
	v_add_u32_e32 v3, v3, v20
	s_nop 1
	v_mov_b32_dpp v20, v3 row_bcast:31 row_mask:0xf bank_mask:0xf
	v_cndmask_b32_e64 v20, 0, v20, s[4:5]
	v_add_u32_e32 v3, v3, v20
	s_and_saveexec_b64 s[4:5], s[2:3]
; %bb.62:
	v_mov_b32_e32 v20, 0
	ds_write_b32 v20, v3 offset:1184
; %bb.63:
	s_or_b64 exec, exec, s[4:5]
	ds_bpermute_b32 v3, v16, v3
	v_mov_b32_e32 v16, 0
	s_waitcnt lgkmcnt(0)
	; wave barrier
	ds_read_b32 v16, v16 offset:1184
	v_cndmask_b32_e64 v3, v3, 0, s[0:1]
	s_waitcnt lgkmcnt(0)
	v_lshl_add_u32 v3, v16, 16, v3
	v_add_u32_e32 v4, v3, v4
	v_add_u32_e32 v5, v4, v5
	v_add_u32_e32 v6, v5, v6
	v_add_u32_e32 v20, v6, v7
	v_add_u32_e32 v21, v20, v0
	v_add_u32_e32 v0, v21, v1
	v_add_u32_e32 v1, v0, v2
	ds_write2_b64 v15, v[3:4], v[5:6] offset1:1
	ds_write2_b64 v15, v[20:21], v[0:1] offset0:2 offset1:3
	s_waitcnt lgkmcnt(0)
	; wave barrier
	ds_read_u16 v0, v17
	v_and_b32_e32 v1, 0xffff, v19
	s_waitcnt lgkmcnt(0)
	; wave barrier
	v_add_lshl_u32 v0, v0, v1, 1
	ds_write_b16 v0, v8
	s_waitcnt lgkmcnt(0)
	; wave barrier
	ds_read_u16 v2, v14
	v_add_u32_e32 v0, v0, v0
	s_waitcnt lgkmcnt(0)
	; wave barrier
	ds_write_b32 v0, v18
	s_waitcnt lgkmcnt(0)
	; wave barrier
.LBB47_64:
	v_add_u32_e32 v0, v14, v13
	ds_read_b32 v0, v0
	v_mov_b32_e32 v1, 0xffff8000
	v_cmp_lt_i16_e32 vcc, -1, v2
	v_cndmask_b32_e64 v1, v1, -1, vcc
	v_xor_b32_e32 v1, v1, v2
	global_store_short v[9:10], v1, off
	s_waitcnt lgkmcnt(0)
	global_store_dword v[11:12], v0, off
	s_endpgm
	.section	.rodata,"a",@progbits
	.p2align	6, 0x0
	.amdhsa_kernel _Z21sort_key_value_kernelILj37ELj1ELb0ELb0E12hip_bfloat16iEvPT3_PT4_jj
		.amdhsa_group_segment_fixed_size 1200
		.amdhsa_private_segment_fixed_size 0
		.amdhsa_kernarg_size 24
		.amdhsa_user_sgpr_count 6
		.amdhsa_user_sgpr_private_segment_buffer 1
		.amdhsa_user_sgpr_dispatch_ptr 0
		.amdhsa_user_sgpr_queue_ptr 0
		.amdhsa_user_sgpr_kernarg_segment_ptr 1
		.amdhsa_user_sgpr_dispatch_id 0
		.amdhsa_user_sgpr_flat_scratch_init 0
		.amdhsa_user_sgpr_private_segment_size 0
		.amdhsa_uses_dynamic_stack 0
		.amdhsa_system_sgpr_private_segment_wavefront_offset 0
		.amdhsa_system_sgpr_workgroup_id_x 1
		.amdhsa_system_sgpr_workgroup_id_y 0
		.amdhsa_system_sgpr_workgroup_id_z 0
		.amdhsa_system_sgpr_workgroup_info 0
		.amdhsa_system_vgpr_workitem_id 0
		.amdhsa_next_free_vgpr 27
		.amdhsa_next_free_sgpr 42
		.amdhsa_reserve_vcc 1
		.amdhsa_reserve_flat_scratch 0
		.amdhsa_float_round_mode_32 0
		.amdhsa_float_round_mode_16_64 0
		.amdhsa_float_denorm_mode_32 3
		.amdhsa_float_denorm_mode_16_64 3
		.amdhsa_dx10_clamp 1
		.amdhsa_ieee_mode 1
		.amdhsa_fp16_overflow 0
		.amdhsa_exception_fp_ieee_invalid_op 0
		.amdhsa_exception_fp_denorm_src 0
		.amdhsa_exception_fp_ieee_div_zero 0
		.amdhsa_exception_fp_ieee_overflow 0
		.amdhsa_exception_fp_ieee_underflow 0
		.amdhsa_exception_fp_ieee_inexact 0
		.amdhsa_exception_int_div_zero 0
	.end_amdhsa_kernel
	.section	.text._Z21sort_key_value_kernelILj37ELj1ELb0ELb0E12hip_bfloat16iEvPT3_PT4_jj,"axG",@progbits,_Z21sort_key_value_kernelILj37ELj1ELb0ELb0E12hip_bfloat16iEvPT3_PT4_jj,comdat
.Lfunc_end47:
	.size	_Z21sort_key_value_kernelILj37ELj1ELb0ELb0E12hip_bfloat16iEvPT3_PT4_jj, .Lfunc_end47-_Z21sort_key_value_kernelILj37ELj1ELb0ELb0E12hip_bfloat16iEvPT3_PT4_jj
                                        ; -- End function
	.set _Z21sort_key_value_kernelILj37ELj1ELb0ELb0E12hip_bfloat16iEvPT3_PT4_jj.num_vgpr, 27
	.set _Z21sort_key_value_kernelILj37ELj1ELb0ELb0E12hip_bfloat16iEvPT3_PT4_jj.num_agpr, 0
	.set _Z21sort_key_value_kernelILj37ELj1ELb0ELb0E12hip_bfloat16iEvPT3_PT4_jj.numbered_sgpr, 42
	.set _Z21sort_key_value_kernelILj37ELj1ELb0ELb0E12hip_bfloat16iEvPT3_PT4_jj.num_named_barrier, 0
	.set _Z21sort_key_value_kernelILj37ELj1ELb0ELb0E12hip_bfloat16iEvPT3_PT4_jj.private_seg_size, 0
	.set _Z21sort_key_value_kernelILj37ELj1ELb0ELb0E12hip_bfloat16iEvPT3_PT4_jj.uses_vcc, 1
	.set _Z21sort_key_value_kernelILj37ELj1ELb0ELb0E12hip_bfloat16iEvPT3_PT4_jj.uses_flat_scratch, 0
	.set _Z21sort_key_value_kernelILj37ELj1ELb0ELb0E12hip_bfloat16iEvPT3_PT4_jj.has_dyn_sized_stack, 0
	.set _Z21sort_key_value_kernelILj37ELj1ELb0ELb0E12hip_bfloat16iEvPT3_PT4_jj.has_recursion, 0
	.set _Z21sort_key_value_kernelILj37ELj1ELb0ELb0E12hip_bfloat16iEvPT3_PT4_jj.has_indirect_call, 0
	.section	.AMDGPU.csdata,"",@progbits
; Kernel info:
; codeLenInByte = 3868
; TotalNumSgprs: 46
; NumVgprs: 27
; ScratchSize: 0
; MemoryBound: 0
; FloatMode: 240
; IeeeMode: 1
; LDSByteSize: 1200 bytes/workgroup (compile time only)
; SGPRBlocks: 5
; VGPRBlocks: 6
; NumSGPRsForWavesPerEU: 46
; NumVGPRsForWavesPerEU: 27
; Occupancy: 9
; WaveLimiterHint : 0
; COMPUTE_PGM_RSRC2:SCRATCH_EN: 0
; COMPUTE_PGM_RSRC2:USER_SGPR: 6
; COMPUTE_PGM_RSRC2:TRAP_HANDLER: 0
; COMPUTE_PGM_RSRC2:TGID_X_EN: 1
; COMPUTE_PGM_RSRC2:TGID_Y_EN: 0
; COMPUTE_PGM_RSRC2:TGID_Z_EN: 0
; COMPUTE_PGM_RSRC2:TIDIG_COMP_CNT: 0
	.section	.text._Z21sort_key_value_kernelILj37ELj1ELb0ELb0EfiEvPT3_PT4_jj,"axG",@progbits,_Z21sort_key_value_kernelILj37ELj1ELb0ELb0EfiEvPT3_PT4_jj,comdat
	.protected	_Z21sort_key_value_kernelILj37ELj1ELb0ELb0EfiEvPT3_PT4_jj ; -- Begin function _Z21sort_key_value_kernelILj37ELj1ELb0ELb0EfiEvPT3_PT4_jj
	.globl	_Z21sort_key_value_kernelILj37ELj1ELb0ELb0EfiEvPT3_PT4_jj
	.p2align	8
	.type	_Z21sort_key_value_kernelILj37ELj1ELb0ELb0EfiEvPT3_PT4_jj,@function
_Z21sort_key_value_kernelILj37ELj1ELb0ELb0EfiEvPT3_PT4_jj: ; @_Z21sort_key_value_kernelILj37ELj1ELb0ELb0EfiEvPT3_PT4_jj
; %bb.0:
	s_load_dwordx4 s[0:3], s[4:5], 0x0
	s_load_dwordx2 s[38:39], s[4:5], 0x10
	s_mul_i32 s4, s6, 37
	s_mov_b32 s5, 0
	s_lshl_b64 s[4:5], s[4:5], 2
	s_waitcnt lgkmcnt(0)
	s_add_u32 s34, s0, s4
	s_addc_u32 s35, s1, s5
	v_lshlrev_b32_e32 v16, 2, v0
	global_load_dword v1, v16, s[34:35]
	s_add_u32 s36, s2, s4
	s_addc_u32 s37, s3, s5
	global_load_dword v18, v16, s[36:37]
	v_mbcnt_lo_u32_b32 v2, -1, 0
	s_cmp_eq_u32 s38, 0
	s_movk_i32 s0, 0x128
	v_mbcnt_hi_u32_b32 v2, -1, v2
	s_cselect_b64 s[18:19], -1, 0
	s_cmp_eq_u32 s39, 32
	v_cmp_gt_u32_e64 s[16:17], s0, v0
	v_subrev_co_u32_e64 v5, s[0:1], 1, v2
	v_and_b32_e32 v6, 64, v2
	s_cselect_b64 s[20:21], -1, 0
	v_cmp_lt_i32_e32 vcc, v5, v6
	s_and_b64 s[18:19], s[18:19], s[20:21]
	v_bfrev_b32_e32 v10, 1
	v_and_b32_e32 v3, 15, v2
	v_and_b32_e32 v4, 16, v2
	v_cmp_lt_u32_e64 s[4:5], 31, v2
	v_cndmask_b32_e32 v2, v5, v2, vcc
	s_and_b64 vcc, exec, s[18:19]
	v_lshlrev_b32_e32 v15, 2, v2
	v_mov_b32_e32 v9, 0
	v_lshlrev_b32_e32 v13, 5, v0
	v_cmp_eq_u32_e64 s[2:3], 36, v0
	v_mul_i32_i24_e32 v14, 0xffffffe4, v0
	v_cmp_eq_u32_e64 s[14:15], 0, v3
	v_cmp_lt_u32_e64 s[12:13], 1, v3
	v_cmp_lt_u32_e64 s[10:11], 3, v3
	;; [unrolled: 1-line block ×3, first 2 shown]
	v_cmp_eq_u32_e64 s[6:7], 0, v4
	v_mov_b32_e32 v11, s35
	v_mov_b32_e32 v12, s37
	s_waitcnt vmcnt(1)
	v_cmp_lt_i32_e64 s[18:19], -1, v1
	v_cndmask_b32_e64 v2, -1, v10, s[18:19]
	v_xor_b32_e32 v17, v2, v1
	s_cbranch_vccnz .LBB48_16
; %bb.1:
	s_movk_i32 s18, 0x103
	s_movk_i32 s20, 0xde
	;; [unrolled: 1-line block ×6, first 2 shown]
	s_sub_i32 s33, s39, s38
	v_cmp_gt_u32_e64 s[18:19], s18, v0
	v_cmp_gt_u32_e64 s[20:21], s20, v0
	;; [unrolled: 1-line block ×7, first 2 shown]
	v_mov_b32_e32 v20, s33
	s_brev_b32 s33, -2
	v_mov_b32_e32 v21, 2
	s_waitcnt vmcnt(0)
	v_mov_b32_e32 v3, v18
	v_mov_b32_e32 v2, v17
	s_branch .LBB48_3
.LBB48_2:                               ;   in Loop: Header=BB48_3 Depth=1
	s_andn2_b64 vcc, exec, s[40:41]
	s_cbranch_vccz .LBB48_17
.LBB48_3:                               ; =>This Inner Loop Header: Depth=1
	v_mov_b32_e32 v22, v2
	v_mov_b32_e32 v19, v3
	s_and_saveexec_b64 s[40:41], s[16:17]
	s_cbranch_execz .LBB48_12
; %bb.4:                                ;   in Loop: Header=BB48_3 Depth=1
	ds_write_b32 v16, v9
	s_and_b64 exec, exec, s[18:19]
	s_cbranch_execz .LBB48_12
; %bb.5:                                ;   in Loop: Header=BB48_3 Depth=1
	ds_write_b32 v16, v9 offset:148
	s_and_b64 exec, exec, s[20:21]
	s_cbranch_execz .LBB48_12
; %bb.6:                                ;   in Loop: Header=BB48_3 Depth=1
	ds_write_b32 v16, v9 offset:296
	;; [unrolled: 4-line block ×5, first 2 shown]
	s_and_b64 exec, exec, s[28:29]
	s_cbranch_execz .LBB48_12
; %bb.10:                               ;   in Loop: Header=BB48_3 Depth=1
	ds_write_b32 v16, v9 offset:888
	s_and_b64 exec, exec, s[30:31]
; %bb.11:                               ;   in Loop: Header=BB48_3 Depth=1
	ds_write_b32 v16, v9 offset:1036
.LBB48_12:                              ;   in Loop: Header=BB48_3 Depth=1
	s_or_b64 exec, exec, s[40:41]
	v_cmp_ne_u32_e32 vcc, s33, v22
	v_cndmask_b32_e32 v2, v10, v22, vcc
	v_min_u32_e32 v1, 4, v20
	v_lshrrev_b32_e32 v2, s38, v2
	v_bfe_u32 v1, v2, 0, v1
	v_and_b32_e32 v2, 7, v1
	v_lshrrev_b32_e32 v1, 2, v1
	v_mad_u32_u24 v2, v2, 37, v0
	v_and_b32_e32 v1, 30, v1
	v_lshl_add_u32 v24, v2, 2, v1
	ds_read_u16 v23, v24
	s_waitcnt lgkmcnt(0)
	v_add_u16_e32 v1, 1, v23
	ds_write_b16 v24, v1
	s_waitcnt lgkmcnt(0)
	; wave barrier
	ds_read2_b64 v[5:8], v13 offset1:1
	ds_read2_b64 v[1:4], v13 offset0:2 offset1:3
	s_waitcnt lgkmcnt(1)
	v_add_u32_e32 v25, v6, v5
	v_add3_u32 v25, v25, v7, v8
	s_waitcnt lgkmcnt(0)
	v_add3_u32 v25, v25, v1, v2
	v_add3_u32 v4, v25, v3, v4
	s_nop 1
	v_mov_b32_dpp v25, v4 row_shr:1 row_mask:0xf bank_mask:0xf
	v_cndmask_b32_e64 v25, v25, 0, s[14:15]
	v_add_u32_e32 v4, v25, v4
	s_nop 1
	v_mov_b32_dpp v25, v4 row_shr:2 row_mask:0xf bank_mask:0xf
	v_cndmask_b32_e64 v25, 0, v25, s[12:13]
	v_add_u32_e32 v4, v4, v25
	;; [unrolled: 4-line block ×4, first 2 shown]
	s_nop 1
	v_mov_b32_dpp v25, v4 row_bcast:15 row_mask:0xf bank_mask:0xf
	v_cndmask_b32_e64 v25, v25, 0, s[6:7]
	v_add_u32_e32 v4, v4, v25
	s_nop 1
	v_mov_b32_dpp v25, v4 row_bcast:31 row_mask:0xf bank_mask:0xf
	v_cndmask_b32_e64 v25, 0, v25, s[4:5]
	v_add_u32_e32 v4, v4, v25
	s_and_saveexec_b64 s[40:41], s[2:3]
; %bb.13:                               ;   in Loop: Header=BB48_3 Depth=1
	ds_write_b32 v9, v4 offset:1184
; %bb.14:                               ;   in Loop: Header=BB48_3 Depth=1
	s_or_b64 exec, exec, s[40:41]
	ds_bpermute_b32 v4, v15, v4
	s_waitcnt lgkmcnt(0)
	; wave barrier
	ds_read_b32 v25, v9 offset:1184
	s_add_i32 s38, s38, 4
	v_cndmask_b32_e64 v4, v4, 0, s[0:1]
	s_cmp_ge_u32 s38, s39
	s_mov_b64 s[40:41], -1
	s_waitcnt lgkmcnt(0)
	v_lshl_add_u32 v4, v25, 16, v4
	v_add_u32_e32 v5, v4, v5
	v_add_u32_e32 v6, v5, v6
	;; [unrolled: 1-line block ×7, first 2 shown]
	ds_write2_b64 v13, v[4:5], v[6:7] offset1:1
	ds_write2_b64 v13, v[25:26], v[1:2] offset0:2 offset1:3
	s_waitcnt lgkmcnt(0)
	; wave barrier
	ds_read_u16 v1, v24
	v_lshlrev_b32_sdwa v2, v21, v23 dst_sel:DWORD dst_unused:UNUSED_PAD src0_sel:DWORD src1_sel:WORD_0
	s_waitcnt lgkmcnt(0)
                                        ; implicit-def: $vgpr3
	v_lshl_add_u32 v1, v1, 2, v2
                                        ; implicit-def: $vgpr2
	s_cbranch_scc1 .LBB48_2
; %bb.15:                               ;   in Loop: Header=BB48_3 Depth=1
	v_add_u32_e32 v3, v13, v14
	; wave barrier
	ds_write_b32 v1, v22
	s_waitcnt lgkmcnt(0)
	; wave barrier
	ds_read_b32 v2, v3
	s_waitcnt lgkmcnt(0)
	; wave barrier
	ds_write_b32 v1, v19
	s_waitcnt lgkmcnt(0)
	; wave barrier
	ds_read_b32 v3, v3
	v_add_u32_e32 v20, -4, v20
	s_mov_b64 s[40:41], 0
	s_waitcnt lgkmcnt(0)
	; wave barrier
	s_branch .LBB48_2
.LBB48_16:
	s_mov_b64 s[18:19], -1
                                        ; implicit-def: $vgpr2
	s_branch .LBB48_18
.LBB48_17:
	v_add_u32_e32 v2, v13, v14
	; wave barrier
	ds_write_b32 v1, v22
	s_waitcnt lgkmcnt(0)
	; wave barrier
	ds_read_b32 v2, v2
	s_mov_b64 s[18:19], 0
	s_waitcnt lgkmcnt(0)
	; wave barrier
	ds_write_b32 v1, v19
	s_waitcnt lgkmcnt(0)
	; wave barrier
.LBB48_18:
	v_add_co_u32_e32 v9, vcc, s34, v16
	v_addc_co_u32_e32 v10, vcc, 0, v11, vcc
	v_add_co_u32_e32 v11, vcc, s36, v16
	v_addc_co_u32_e32 v12, vcc, 0, v12, vcc
	s_and_b64 vcc, exec, s[18:19]
	s_cbranch_vccz .LBB48_108
; %bb.19:
	s_and_saveexec_b64 s[18:19], s[16:17]
	s_cbranch_execz .LBB48_28
; %bb.20:
	s_movk_i32 s20, 0x103
	v_add_u32_e32 v1, v13, v14
	v_mov_b32_e32 v2, 0
	v_cmp_gt_u32_e32 vcc, s20, v0
	ds_write_b32 v1, v2
	s_and_b64 exec, exec, vcc
	s_cbranch_execz .LBB48_28
; %bb.21:
	s_movk_i32 s20, 0xde
	v_cmp_gt_u32_e32 vcc, s20, v0
	ds_write_b32 v1, v2 offset:148
	s_and_b64 exec, exec, vcc
	s_cbranch_execz .LBB48_28
; %bb.22:
	s_movk_i32 s20, 0xb9
	v_mov_b32_e32 v2, 0
	v_cmp_gt_u32_e32 vcc, s20, v0
	ds_write_b32 v1, v2 offset:296
	s_and_b64 exec, exec, vcc
	s_cbranch_execz .LBB48_28
; %bb.23:
	s_movk_i32 s20, 0x94
	v_cmp_gt_u32_e32 vcc, s20, v0
	ds_write_b32 v1, v2 offset:444
	s_and_b64 exec, exec, vcc
	s_cbranch_execz .LBB48_28
; %bb.24:
	s_movk_i32 s20, 0x6f
	v_mov_b32_e32 v2, 0
	v_cmp_gt_u32_e32 vcc, s20, v0
	ds_write_b32 v1, v2 offset:592
	s_and_b64 exec, exec, vcc
	s_cbranch_execz .LBB48_28
; %bb.25:
	s_movk_i32 s20, 0x4a
	v_cmp_gt_u32_e32 vcc, s20, v0
	ds_write_b32 v1, v2 offset:740
	s_and_b64 exec, exec, vcc
	s_cbranch_execz .LBB48_28
; %bb.26:
	v_mov_b32_e32 v2, 0
	v_cmp_gt_u32_e32 vcc, 37, v0
	ds_write_b32 v1, v2 offset:888
	s_and_b64 exec, exec, vcc
; %bb.27:
	ds_write_b32 v1, v2 offset:1036
.LBB48_28:
	s_or_b64 exec, exec, s[18:19]
	s_brev_b32 s18, -2
	v_bfrev_b32_e32 v1, 1
	v_cmp_ne_u32_e32 vcc, s18, v17
	v_cndmask_b32_e32 v1, v1, v17, vcc
	v_and_b32_e32 v2, 7, v1
	v_lshrrev_b32_e32 v1, 2, v1
	v_mad_u32_u24 v2, v2, 37, v0
	v_and_b32_e32 v1, 2, v1
	v_lshl_or_b32 v20, v2, 2, v1
	ds_read_u16 v19, v20
	s_waitcnt lgkmcnt(0)
	v_add_u16_e32 v1, 1, v19
	ds_write_b16 v20, v1
	s_waitcnt lgkmcnt(0)
	; wave barrier
	ds_read2_b64 v[5:8], v13 offset1:1
	ds_read2_b64 v[1:4], v13 offset0:2 offset1:3
	s_waitcnt lgkmcnt(1)
	v_add_u32_e32 v21, v6, v5
	v_add3_u32 v21, v21, v7, v8
	s_waitcnt lgkmcnt(0)
	v_add3_u32 v21, v21, v1, v2
	v_add3_u32 v4, v21, v3, v4
	s_nop 1
	v_mov_b32_dpp v21, v4 row_shr:1 row_mask:0xf bank_mask:0xf
	v_cndmask_b32_e64 v21, v21, 0, s[14:15]
	v_add_u32_e32 v4, v21, v4
	s_nop 1
	v_mov_b32_dpp v21, v4 row_shr:2 row_mask:0xf bank_mask:0xf
	v_cndmask_b32_e64 v21, 0, v21, s[12:13]
	v_add_u32_e32 v4, v4, v21
	;; [unrolled: 4-line block ×4, first 2 shown]
	s_nop 1
	v_mov_b32_dpp v21, v4 row_bcast:15 row_mask:0xf bank_mask:0xf
	v_cndmask_b32_e64 v21, v21, 0, s[6:7]
	v_add_u32_e32 v4, v4, v21
	s_nop 1
	v_mov_b32_dpp v21, v4 row_bcast:31 row_mask:0xf bank_mask:0xf
	v_cndmask_b32_e64 v21, 0, v21, s[4:5]
	v_add_u32_e32 v4, v4, v21
	s_and_saveexec_b64 s[18:19], s[2:3]
; %bb.29:
	v_mov_b32_e32 v21, 0
	ds_write_b32 v21, v4 offset:1184
; %bb.30:
	s_or_b64 exec, exec, s[18:19]
	ds_bpermute_b32 v21, v15, v4
	v_mov_b32_e32 v4, 0
	s_waitcnt lgkmcnt(0)
	; wave barrier
	ds_read_b32 v22, v4 offset:1184
	v_cndmask_b32_e64 v21, v21, 0, s[0:1]
	s_waitcnt lgkmcnt(0)
	v_lshl_add_u32 v21, v22, 16, v21
	v_add_u32_e32 v22, v21, v5
	v_add_u32_e32 v5, v22, v6
	;; [unrolled: 1-line block ×7, first 2 shown]
	ds_write2_b64 v13, v[21:22], v[5:6] offset1:1
	ds_write2_b64 v13, v[7:8], v[1:2] offset0:2 offset1:3
	s_waitcnt lgkmcnt(0)
	; wave barrier
	ds_read_u16 v1, v20
	v_mov_b32_e32 v2, 2
	v_lshlrev_b32_sdwa v2, v2, v19 dst_sel:DWORD dst_unused:UNUSED_PAD src0_sel:DWORD src1_sel:WORD_0
	s_waitcnt lgkmcnt(0)
	; wave barrier
	v_lshl_add_u32 v1, v1, 2, v2
	ds_write_b32 v1, v17
	v_add_u32_e32 v17, v13, v14
	s_waitcnt lgkmcnt(0)
	; wave barrier
	ds_read_b32 v19, v17
	s_waitcnt vmcnt(0) lgkmcnt(0)
	; wave barrier
	ds_write_b32 v1, v18
	s_waitcnt lgkmcnt(0)
	; wave barrier
	ds_read_b32 v18, v17
	s_waitcnt lgkmcnt(0)
	; wave barrier
	s_and_saveexec_b64 s[18:19], s[16:17]
	s_cbranch_execz .LBB48_39
; %bb.31:
	s_movk_i32 s20, 0x103
	v_cmp_gt_u32_e32 vcc, s20, v0
	ds_write_b32 v16, v4
	s_and_b64 exec, exec, vcc
	s_cbranch_execz .LBB48_39
; %bb.32:
	s_movk_i32 s20, 0xde
	v_mov_b32_e32 v1, 0
	v_cmp_gt_u32_e32 vcc, s20, v0
	ds_write_b32 v16, v1 offset:148
	s_and_b64 exec, exec, vcc
	s_cbranch_execz .LBB48_39
; %bb.33:
	s_movk_i32 s20, 0xb9
	v_cmp_gt_u32_e32 vcc, s20, v0
	ds_write_b32 v16, v1 offset:296
	s_and_b64 exec, exec, vcc
	s_cbranch_execz .LBB48_39
; %bb.34:
	s_movk_i32 s20, 0x94
	v_mov_b32_e32 v1, 0
	v_cmp_gt_u32_e32 vcc, s20, v0
	ds_write_b32 v16, v1 offset:444
	s_and_b64 exec, exec, vcc
	s_cbranch_execz .LBB48_39
; %bb.35:
	s_movk_i32 s20, 0x6f
	v_cmp_gt_u32_e32 vcc, s20, v0
	ds_write_b32 v16, v1 offset:592
	s_and_b64 exec, exec, vcc
	s_cbranch_execz .LBB48_39
; %bb.36:
	s_movk_i32 s20, 0x4a
	v_mov_b32_e32 v1, 0
	v_cmp_gt_u32_e32 vcc, s20, v0
	ds_write_b32 v16, v1 offset:740
	s_and_b64 exec, exec, vcc
	s_cbranch_execz .LBB48_39
; %bb.37:
	v_cmp_gt_u32_e32 vcc, 37, v0
	ds_write_b32 v16, v1 offset:888
	s_and_b64 exec, exec, vcc
; %bb.38:
	v_mov_b32_e32 v1, 0
	ds_write_b32 v16, v1 offset:1036
.LBB48_39:
	s_or_b64 exec, exec, s[18:19]
	s_brev_b32 s18, -2
	v_lshrrev_b32_e32 v1, 4, v19
	v_bfrev_b32_e32 v2, 16
	v_cmp_ne_u32_e32 vcc, s18, v19
	v_cndmask_b32_e32 v1, v2, v1, vcc
	v_and_b32_e32 v2, 7, v1
	v_lshrrev_b32_e32 v1, 2, v1
	v_mad_u32_u24 v2, v2, 37, v0
	v_and_b32_e32 v1, 2, v1
	v_lshl_or_b32 v21, v2, 2, v1
	ds_read_u16 v20, v21
	s_waitcnt lgkmcnt(0)
	v_add_u16_e32 v1, 1, v20
	ds_write_b16 v21, v1
	s_waitcnt lgkmcnt(0)
	; wave barrier
	ds_read2_b64 v[5:8], v13 offset1:1
	ds_read2_b64 v[1:4], v13 offset0:2 offset1:3
	s_waitcnt lgkmcnt(1)
	v_add_u32_e32 v22, v6, v5
	v_add3_u32 v22, v22, v7, v8
	s_waitcnt lgkmcnt(0)
	v_add3_u32 v22, v22, v1, v2
	v_add3_u32 v4, v22, v3, v4
	s_nop 1
	v_mov_b32_dpp v22, v4 row_shr:1 row_mask:0xf bank_mask:0xf
	v_cndmask_b32_e64 v22, v22, 0, s[14:15]
	v_add_u32_e32 v4, v22, v4
	s_nop 1
	v_mov_b32_dpp v22, v4 row_shr:2 row_mask:0xf bank_mask:0xf
	v_cndmask_b32_e64 v22, 0, v22, s[12:13]
	v_add_u32_e32 v4, v4, v22
	;; [unrolled: 4-line block ×4, first 2 shown]
	s_nop 1
	v_mov_b32_dpp v22, v4 row_bcast:15 row_mask:0xf bank_mask:0xf
	v_cndmask_b32_e64 v22, v22, 0, s[6:7]
	v_add_u32_e32 v4, v4, v22
	s_nop 1
	v_mov_b32_dpp v22, v4 row_bcast:31 row_mask:0xf bank_mask:0xf
	v_cndmask_b32_e64 v22, 0, v22, s[4:5]
	v_add_u32_e32 v4, v4, v22
	s_and_saveexec_b64 s[18:19], s[2:3]
; %bb.40:
	v_mov_b32_e32 v22, 0
	ds_write_b32 v22, v4 offset:1184
; %bb.41:
	s_or_b64 exec, exec, s[18:19]
	ds_bpermute_b32 v22, v15, v4
	v_mov_b32_e32 v4, 0
	s_waitcnt lgkmcnt(0)
	; wave barrier
	ds_read_b32 v23, v4 offset:1184
	v_cndmask_b32_e64 v22, v22, 0, s[0:1]
	s_waitcnt lgkmcnt(0)
	v_lshl_add_u32 v22, v23, 16, v22
	v_add_u32_e32 v23, v22, v5
	v_add_u32_e32 v5, v23, v6
	;; [unrolled: 1-line block ×7, first 2 shown]
	ds_write2_b64 v13, v[22:23], v[5:6] offset1:1
	ds_write2_b64 v13, v[7:8], v[1:2] offset0:2 offset1:3
	s_waitcnt lgkmcnt(0)
	; wave barrier
	ds_read_u16 v1, v21
	v_mov_b32_e32 v2, 2
	v_lshlrev_b32_sdwa v2, v2, v20 dst_sel:DWORD dst_unused:UNUSED_PAD src0_sel:DWORD src1_sel:WORD_0
	s_waitcnt lgkmcnt(0)
	; wave barrier
	v_lshl_add_u32 v1, v1, 2, v2
	ds_write_b32 v1, v19
	s_waitcnt lgkmcnt(0)
	; wave barrier
	ds_read_b32 v19, v17
	s_waitcnt lgkmcnt(0)
	; wave barrier
	ds_write_b32 v1, v18
	s_waitcnt lgkmcnt(0)
	; wave barrier
	ds_read_b32 v18, v17
	s_waitcnt lgkmcnt(0)
	; wave barrier
	s_and_saveexec_b64 s[18:19], s[16:17]
	s_cbranch_execz .LBB48_50
; %bb.42:
	s_movk_i32 s20, 0x103
	v_cmp_gt_u32_e32 vcc, s20, v0
	ds_write_b32 v16, v4
	s_and_b64 exec, exec, vcc
	s_cbranch_execz .LBB48_50
; %bb.43:
	s_movk_i32 s20, 0xde
	v_mov_b32_e32 v1, 0
	v_cmp_gt_u32_e32 vcc, s20, v0
	ds_write_b32 v16, v1 offset:148
	s_and_b64 exec, exec, vcc
	s_cbranch_execz .LBB48_50
; %bb.44:
	s_movk_i32 s20, 0xb9
	v_cmp_gt_u32_e32 vcc, s20, v0
	ds_write_b32 v16, v1 offset:296
	s_and_b64 exec, exec, vcc
	s_cbranch_execz .LBB48_50
; %bb.45:
	s_movk_i32 s20, 0x94
	v_mov_b32_e32 v1, 0
	v_cmp_gt_u32_e32 vcc, s20, v0
	ds_write_b32 v16, v1 offset:444
	s_and_b64 exec, exec, vcc
	s_cbranch_execz .LBB48_50
; %bb.46:
	s_movk_i32 s20, 0x6f
	v_cmp_gt_u32_e32 vcc, s20, v0
	ds_write_b32 v16, v1 offset:592
	s_and_b64 exec, exec, vcc
	s_cbranch_execz .LBB48_50
; %bb.47:
	s_movk_i32 s20, 0x4a
	v_mov_b32_e32 v1, 0
	v_cmp_gt_u32_e32 vcc, s20, v0
	ds_write_b32 v16, v1 offset:740
	s_and_b64 exec, exec, vcc
	s_cbranch_execz .LBB48_50
; %bb.48:
	v_cmp_gt_u32_e32 vcc, 37, v0
	ds_write_b32 v16, v1 offset:888
	s_and_b64 exec, exec, vcc
; %bb.49:
	v_mov_b32_e32 v1, 0
	ds_write_b32 v16, v1 offset:1036
.LBB48_50:
	s_or_b64 exec, exec, s[18:19]
	s_brev_b32 s18, -2
	v_lshrrev_b32_e32 v1, 8, v19
	v_mov_b32_e32 v2, 0x800000
	v_cmp_ne_u32_e32 vcc, s18, v19
	v_cndmask_b32_e32 v1, v2, v1, vcc
	v_and_b32_e32 v2, 7, v1
	v_lshrrev_b32_e32 v1, 2, v1
	v_mad_u32_u24 v2, v2, 37, v0
	v_and_b32_e32 v1, 2, v1
	v_lshl_or_b32 v21, v2, 2, v1
	ds_read_u16 v20, v21
	s_waitcnt lgkmcnt(0)
	v_add_u16_e32 v1, 1, v20
	ds_write_b16 v21, v1
	s_waitcnt lgkmcnt(0)
	; wave barrier
	ds_read2_b64 v[5:8], v13 offset1:1
	ds_read2_b64 v[1:4], v13 offset0:2 offset1:3
	s_waitcnt lgkmcnt(1)
	v_add_u32_e32 v22, v6, v5
	v_add3_u32 v22, v22, v7, v8
	s_waitcnt lgkmcnt(0)
	v_add3_u32 v22, v22, v1, v2
	v_add3_u32 v4, v22, v3, v4
	s_nop 1
	v_mov_b32_dpp v22, v4 row_shr:1 row_mask:0xf bank_mask:0xf
	v_cndmask_b32_e64 v22, v22, 0, s[14:15]
	v_add_u32_e32 v4, v22, v4
	s_nop 1
	v_mov_b32_dpp v22, v4 row_shr:2 row_mask:0xf bank_mask:0xf
	v_cndmask_b32_e64 v22, 0, v22, s[12:13]
	v_add_u32_e32 v4, v4, v22
	;; [unrolled: 4-line block ×4, first 2 shown]
	s_nop 1
	v_mov_b32_dpp v22, v4 row_bcast:15 row_mask:0xf bank_mask:0xf
	v_cndmask_b32_e64 v22, v22, 0, s[6:7]
	v_add_u32_e32 v4, v4, v22
	s_nop 1
	v_mov_b32_dpp v22, v4 row_bcast:31 row_mask:0xf bank_mask:0xf
	v_cndmask_b32_e64 v22, 0, v22, s[4:5]
	v_add_u32_e32 v4, v4, v22
	s_and_saveexec_b64 s[18:19], s[2:3]
; %bb.51:
	v_mov_b32_e32 v22, 0
	ds_write_b32 v22, v4 offset:1184
; %bb.52:
	s_or_b64 exec, exec, s[18:19]
	ds_bpermute_b32 v22, v15, v4
	v_mov_b32_e32 v4, 0
	s_waitcnt lgkmcnt(0)
	; wave barrier
	ds_read_b32 v23, v4 offset:1184
	v_cndmask_b32_e64 v22, v22, 0, s[0:1]
	s_waitcnt lgkmcnt(0)
	v_lshl_add_u32 v22, v23, 16, v22
	v_add_u32_e32 v23, v22, v5
	v_add_u32_e32 v5, v23, v6
	;; [unrolled: 1-line block ×7, first 2 shown]
	ds_write2_b64 v13, v[22:23], v[5:6] offset1:1
	ds_write2_b64 v13, v[7:8], v[1:2] offset0:2 offset1:3
	s_waitcnt lgkmcnt(0)
	; wave barrier
	ds_read_u16 v1, v21
	v_mov_b32_e32 v2, 2
	v_lshlrev_b32_sdwa v2, v2, v20 dst_sel:DWORD dst_unused:UNUSED_PAD src0_sel:DWORD src1_sel:WORD_0
	s_waitcnt lgkmcnt(0)
	; wave barrier
	v_lshl_add_u32 v1, v1, 2, v2
	ds_write_b32 v1, v19
	s_waitcnt lgkmcnt(0)
	; wave barrier
	ds_read_b32 v19, v17
	s_waitcnt lgkmcnt(0)
	; wave barrier
	ds_write_b32 v1, v18
	s_waitcnt lgkmcnt(0)
	; wave barrier
	ds_read_b32 v18, v17
	s_waitcnt lgkmcnt(0)
	; wave barrier
	s_and_saveexec_b64 s[18:19], s[16:17]
	s_cbranch_execz .LBB48_61
; %bb.53:
	s_movk_i32 s20, 0x103
	v_cmp_gt_u32_e32 vcc, s20, v0
	ds_write_b32 v16, v4
	s_and_b64 exec, exec, vcc
	s_cbranch_execz .LBB48_61
; %bb.54:
	s_movk_i32 s20, 0xde
	v_mov_b32_e32 v1, 0
	v_cmp_gt_u32_e32 vcc, s20, v0
	ds_write_b32 v16, v1 offset:148
	s_and_b64 exec, exec, vcc
	s_cbranch_execz .LBB48_61
; %bb.55:
	s_movk_i32 s20, 0xb9
	v_cmp_gt_u32_e32 vcc, s20, v0
	ds_write_b32 v16, v1 offset:296
	s_and_b64 exec, exec, vcc
	s_cbranch_execz .LBB48_61
; %bb.56:
	s_movk_i32 s20, 0x94
	v_mov_b32_e32 v1, 0
	v_cmp_gt_u32_e32 vcc, s20, v0
	ds_write_b32 v16, v1 offset:444
	s_and_b64 exec, exec, vcc
	s_cbranch_execz .LBB48_61
; %bb.57:
	s_movk_i32 s20, 0x6f
	v_cmp_gt_u32_e32 vcc, s20, v0
	ds_write_b32 v16, v1 offset:592
	s_and_b64 exec, exec, vcc
	s_cbranch_execz .LBB48_61
; %bb.58:
	s_movk_i32 s20, 0x4a
	v_mov_b32_e32 v1, 0
	v_cmp_gt_u32_e32 vcc, s20, v0
	ds_write_b32 v16, v1 offset:740
	s_and_b64 exec, exec, vcc
	s_cbranch_execz .LBB48_61
; %bb.59:
	v_cmp_gt_u32_e32 vcc, 37, v0
	ds_write_b32 v16, v1 offset:888
	s_and_b64 exec, exec, vcc
; %bb.60:
	v_mov_b32_e32 v1, 0
	ds_write_b32 v16, v1 offset:1036
.LBB48_61:
	s_or_b64 exec, exec, s[18:19]
	s_brev_b32 s18, -2
	v_lshrrev_b32_e32 v1, 12, v19
	v_mov_b32_e32 v2, 0x80000
	v_cmp_ne_u32_e32 vcc, s18, v19
	v_cndmask_b32_e32 v1, v2, v1, vcc
	v_and_b32_e32 v2, 7, v1
	v_lshrrev_b32_e32 v1, 2, v1
	v_mad_u32_u24 v2, v2, 37, v0
	v_and_b32_e32 v1, 2, v1
	v_lshl_or_b32 v21, v2, 2, v1
	ds_read_u16 v20, v21
	s_waitcnt lgkmcnt(0)
	v_add_u16_e32 v1, 1, v20
	ds_write_b16 v21, v1
	s_waitcnt lgkmcnt(0)
	; wave barrier
	ds_read2_b64 v[5:8], v13 offset1:1
	ds_read2_b64 v[1:4], v13 offset0:2 offset1:3
	s_waitcnt lgkmcnt(1)
	v_add_u32_e32 v22, v6, v5
	v_add3_u32 v22, v22, v7, v8
	s_waitcnt lgkmcnt(0)
	v_add3_u32 v22, v22, v1, v2
	v_add3_u32 v4, v22, v3, v4
	s_nop 1
	v_mov_b32_dpp v22, v4 row_shr:1 row_mask:0xf bank_mask:0xf
	v_cndmask_b32_e64 v22, v22, 0, s[14:15]
	v_add_u32_e32 v4, v22, v4
	s_nop 1
	v_mov_b32_dpp v22, v4 row_shr:2 row_mask:0xf bank_mask:0xf
	v_cndmask_b32_e64 v22, 0, v22, s[12:13]
	v_add_u32_e32 v4, v4, v22
	;; [unrolled: 4-line block ×4, first 2 shown]
	s_nop 1
	v_mov_b32_dpp v22, v4 row_bcast:15 row_mask:0xf bank_mask:0xf
	v_cndmask_b32_e64 v22, v22, 0, s[6:7]
	v_add_u32_e32 v4, v4, v22
	s_nop 1
	v_mov_b32_dpp v22, v4 row_bcast:31 row_mask:0xf bank_mask:0xf
	v_cndmask_b32_e64 v22, 0, v22, s[4:5]
	v_add_u32_e32 v4, v4, v22
	s_and_saveexec_b64 s[18:19], s[2:3]
; %bb.62:
	v_mov_b32_e32 v22, 0
	ds_write_b32 v22, v4 offset:1184
; %bb.63:
	s_or_b64 exec, exec, s[18:19]
	ds_bpermute_b32 v22, v15, v4
	v_mov_b32_e32 v4, 0
	s_waitcnt lgkmcnt(0)
	; wave barrier
	ds_read_b32 v23, v4 offset:1184
	v_cndmask_b32_e64 v22, v22, 0, s[0:1]
	s_waitcnt lgkmcnt(0)
	v_lshl_add_u32 v22, v23, 16, v22
	v_add_u32_e32 v23, v22, v5
	v_add_u32_e32 v5, v23, v6
	;; [unrolled: 1-line block ×7, first 2 shown]
	ds_write2_b64 v13, v[22:23], v[5:6] offset1:1
	ds_write2_b64 v13, v[7:8], v[1:2] offset0:2 offset1:3
	s_waitcnt lgkmcnt(0)
	; wave barrier
	ds_read_u16 v1, v21
	v_mov_b32_e32 v2, 2
	v_lshlrev_b32_sdwa v2, v2, v20 dst_sel:DWORD dst_unused:UNUSED_PAD src0_sel:DWORD src1_sel:WORD_0
	s_waitcnt lgkmcnt(0)
	; wave barrier
	v_lshl_add_u32 v1, v1, 2, v2
	ds_write_b32 v1, v19
	s_waitcnt lgkmcnt(0)
	; wave barrier
	ds_read_b32 v19, v17
	s_waitcnt lgkmcnt(0)
	; wave barrier
	ds_write_b32 v1, v18
	s_waitcnt lgkmcnt(0)
	; wave barrier
	ds_read_b32 v20, v17
	s_waitcnt lgkmcnt(0)
	; wave barrier
	s_and_saveexec_b64 s[18:19], s[16:17]
	s_cbranch_execz .LBB48_72
; %bb.64:
	s_movk_i32 s20, 0x103
	v_cmp_gt_u32_e32 vcc, s20, v0
	ds_write_b32 v16, v4
	s_and_b64 exec, exec, vcc
	s_cbranch_execz .LBB48_72
; %bb.65:
	s_movk_i32 s20, 0xde
	v_mov_b32_e32 v1, 0
	v_cmp_gt_u32_e32 vcc, s20, v0
	ds_write_b32 v16, v1 offset:148
	s_and_b64 exec, exec, vcc
	s_cbranch_execz .LBB48_72
; %bb.66:
	s_movk_i32 s20, 0xb9
	v_cmp_gt_u32_e32 vcc, s20, v0
	ds_write_b32 v16, v1 offset:296
	s_and_b64 exec, exec, vcc
	s_cbranch_execz .LBB48_72
; %bb.67:
	s_movk_i32 s20, 0x94
	v_mov_b32_e32 v1, 0
	v_cmp_gt_u32_e32 vcc, s20, v0
	ds_write_b32 v16, v1 offset:444
	s_and_b64 exec, exec, vcc
	s_cbranch_execz .LBB48_72
; %bb.68:
	s_movk_i32 s20, 0x6f
	v_cmp_gt_u32_e32 vcc, s20, v0
	ds_write_b32 v16, v1 offset:592
	s_and_b64 exec, exec, vcc
	s_cbranch_execz .LBB48_72
; %bb.69:
	s_movk_i32 s20, 0x4a
	v_mov_b32_e32 v1, 0
	v_cmp_gt_u32_e32 vcc, s20, v0
	ds_write_b32 v16, v1 offset:740
	s_and_b64 exec, exec, vcc
	s_cbranch_execz .LBB48_72
; %bb.70:
	v_cmp_gt_u32_e32 vcc, 37, v0
	ds_write_b32 v16, v1 offset:888
	s_and_b64 exec, exec, vcc
; %bb.71:
	v_mov_b32_e32 v1, 0
	ds_write_b32 v16, v1 offset:1036
.LBB48_72:
	s_or_b64 exec, exec, s[18:19]
	s_brev_b32 s18, -2
	v_cmp_ne_u32_e32 vcc, s18, v19
	v_mov_b32_e32 v1, 0x8000
	v_cndmask_b32_sdwa v1, v1, v19, vcc dst_sel:DWORD dst_unused:UNUSED_PAD src0_sel:DWORD src1_sel:WORD_1
	v_and_b32_e32 v2, 7, v1
	v_lshrrev_b32_e32 v1, 2, v1
	v_mad_u32_u24 v2, v2, 37, v0
	v_and_b32_e32 v1, 2, v1
	v_lshl_or_b32 v21, v2, 2, v1
	ds_read_u16 v18, v21
	s_waitcnt lgkmcnt(0)
	v_add_u16_e32 v1, 1, v18
	ds_write_b16 v21, v1
	s_waitcnt lgkmcnt(0)
	; wave barrier
	ds_read2_b64 v[5:8], v13 offset1:1
	ds_read2_b64 v[1:4], v13 offset0:2 offset1:3
	s_waitcnt lgkmcnt(1)
	v_add_u32_e32 v22, v6, v5
	v_add3_u32 v22, v22, v7, v8
	s_waitcnt lgkmcnt(0)
	v_add3_u32 v22, v22, v1, v2
	v_add3_u32 v4, v22, v3, v4
	s_nop 1
	v_mov_b32_dpp v22, v4 row_shr:1 row_mask:0xf bank_mask:0xf
	v_cndmask_b32_e64 v22, v22, 0, s[14:15]
	v_add_u32_e32 v4, v22, v4
	s_nop 1
	v_mov_b32_dpp v22, v4 row_shr:2 row_mask:0xf bank_mask:0xf
	v_cndmask_b32_e64 v22, 0, v22, s[12:13]
	v_add_u32_e32 v4, v4, v22
	;; [unrolled: 4-line block ×4, first 2 shown]
	s_nop 1
	v_mov_b32_dpp v22, v4 row_bcast:15 row_mask:0xf bank_mask:0xf
	v_cndmask_b32_e64 v22, v22, 0, s[6:7]
	v_add_u32_e32 v4, v4, v22
	s_nop 1
	v_mov_b32_dpp v22, v4 row_bcast:31 row_mask:0xf bank_mask:0xf
	v_cndmask_b32_e64 v22, 0, v22, s[4:5]
	v_add_u32_e32 v4, v4, v22
	s_and_saveexec_b64 s[18:19], s[2:3]
; %bb.73:
	v_mov_b32_e32 v22, 0
	ds_write_b32 v22, v4 offset:1184
; %bb.74:
	s_or_b64 exec, exec, s[18:19]
	ds_bpermute_b32 v22, v15, v4
	v_mov_b32_e32 v4, 0
	s_waitcnt lgkmcnt(0)
	; wave barrier
	ds_read_b32 v23, v4 offset:1184
	v_cndmask_b32_e64 v22, v22, 0, s[0:1]
	s_waitcnt lgkmcnt(0)
	v_lshl_add_u32 v22, v23, 16, v22
	v_add_u32_e32 v23, v22, v5
	v_add_u32_e32 v5, v23, v6
	;; [unrolled: 1-line block ×7, first 2 shown]
	ds_write2_b64 v13, v[22:23], v[5:6] offset1:1
	ds_write2_b64 v13, v[7:8], v[1:2] offset0:2 offset1:3
	s_waitcnt lgkmcnt(0)
	; wave barrier
	ds_read_u16 v1, v21
	v_mov_b32_e32 v2, 2
	v_lshlrev_b32_sdwa v2, v2, v18 dst_sel:DWORD dst_unused:UNUSED_PAD src0_sel:DWORD src1_sel:WORD_0
	s_waitcnt lgkmcnt(0)
	; wave barrier
	v_lshl_add_u32 v1, v1, 2, v2
	ds_write_b32 v1, v19
	s_waitcnt lgkmcnt(0)
	; wave barrier
	ds_read_b32 v18, v17
	s_waitcnt lgkmcnt(0)
	; wave barrier
	ds_write_b32 v1, v20
	s_waitcnt lgkmcnt(0)
	; wave barrier
	ds_read_b32 v19, v17
	s_waitcnt lgkmcnt(0)
	; wave barrier
	s_and_saveexec_b64 s[18:19], s[16:17]
	s_cbranch_execz .LBB48_83
; %bb.75:
	s_movk_i32 s20, 0x103
	v_cmp_gt_u32_e32 vcc, s20, v0
	ds_write_b32 v16, v4
	s_and_b64 exec, exec, vcc
	s_cbranch_execz .LBB48_83
; %bb.76:
	s_movk_i32 s20, 0xde
	v_mov_b32_e32 v1, 0
	v_cmp_gt_u32_e32 vcc, s20, v0
	ds_write_b32 v16, v1 offset:148
	s_and_b64 exec, exec, vcc
	s_cbranch_execz .LBB48_83
; %bb.77:
	s_movk_i32 s20, 0xb9
	v_cmp_gt_u32_e32 vcc, s20, v0
	ds_write_b32 v16, v1 offset:296
	s_and_b64 exec, exec, vcc
	s_cbranch_execz .LBB48_83
; %bb.78:
	s_movk_i32 s20, 0x94
	v_mov_b32_e32 v1, 0
	v_cmp_gt_u32_e32 vcc, s20, v0
	ds_write_b32 v16, v1 offset:444
	s_and_b64 exec, exec, vcc
	s_cbranch_execz .LBB48_83
; %bb.79:
	s_movk_i32 s20, 0x6f
	v_cmp_gt_u32_e32 vcc, s20, v0
	ds_write_b32 v16, v1 offset:592
	s_and_b64 exec, exec, vcc
	s_cbranch_execz .LBB48_83
; %bb.80:
	s_movk_i32 s20, 0x4a
	v_mov_b32_e32 v1, 0
	v_cmp_gt_u32_e32 vcc, s20, v0
	ds_write_b32 v16, v1 offset:740
	s_and_b64 exec, exec, vcc
	s_cbranch_execz .LBB48_83
; %bb.81:
	v_cmp_gt_u32_e32 vcc, 37, v0
	ds_write_b32 v16, v1 offset:888
	s_and_b64 exec, exec, vcc
; %bb.82:
	v_mov_b32_e32 v1, 0
	ds_write_b32 v16, v1 offset:1036
.LBB48_83:
	s_or_b64 exec, exec, s[18:19]
	s_brev_b32 s18, -2
	v_lshrrev_b32_e32 v1, 20, v18
	v_mov_b32_e32 v2, 0x800
	v_cmp_ne_u32_e32 vcc, s18, v18
	v_cndmask_b32_e32 v1, v2, v1, vcc
	v_and_b32_e32 v2, 7, v1
	v_lshrrev_b32_e32 v1, 2, v1
	v_mad_u32_u24 v2, v2, 37, v0
	v_and_b32_e32 v1, 2, v1
	v_lshl_or_b32 v21, v2, 2, v1
	ds_read_u16 v20, v21
	s_waitcnt lgkmcnt(0)
	v_add_u16_e32 v1, 1, v20
	ds_write_b16 v21, v1
	s_waitcnt lgkmcnt(0)
	; wave barrier
	ds_read2_b64 v[5:8], v13 offset1:1
	ds_read2_b64 v[1:4], v13 offset0:2 offset1:3
	s_waitcnt lgkmcnt(1)
	v_add_u32_e32 v22, v6, v5
	v_add3_u32 v22, v22, v7, v8
	s_waitcnt lgkmcnt(0)
	v_add3_u32 v22, v22, v1, v2
	v_add3_u32 v4, v22, v3, v4
	s_nop 1
	v_mov_b32_dpp v22, v4 row_shr:1 row_mask:0xf bank_mask:0xf
	v_cndmask_b32_e64 v22, v22, 0, s[14:15]
	v_add_u32_e32 v4, v22, v4
	s_nop 1
	v_mov_b32_dpp v22, v4 row_shr:2 row_mask:0xf bank_mask:0xf
	v_cndmask_b32_e64 v22, 0, v22, s[12:13]
	v_add_u32_e32 v4, v4, v22
	s_nop 1
	v_mov_b32_dpp v22, v4 row_shr:4 row_mask:0xf bank_mask:0xf
	v_cndmask_b32_e64 v22, 0, v22, s[10:11]
	v_add_u32_e32 v4, v4, v22
	s_nop 1
	v_mov_b32_dpp v22, v4 row_shr:8 row_mask:0xf bank_mask:0xf
	v_cndmask_b32_e64 v22, 0, v22, s[8:9]
	v_add_u32_e32 v4, v4, v22
	s_nop 1
	v_mov_b32_dpp v22, v4 row_bcast:15 row_mask:0xf bank_mask:0xf
	v_cndmask_b32_e64 v22, v22, 0, s[6:7]
	v_add_u32_e32 v4, v4, v22
	s_nop 1
	v_mov_b32_dpp v22, v4 row_bcast:31 row_mask:0xf bank_mask:0xf
	v_cndmask_b32_e64 v22, 0, v22, s[4:5]
	v_add_u32_e32 v4, v4, v22
	s_and_saveexec_b64 s[18:19], s[2:3]
; %bb.84:
	v_mov_b32_e32 v22, 0
	ds_write_b32 v22, v4 offset:1184
; %bb.85:
	s_or_b64 exec, exec, s[18:19]
	ds_bpermute_b32 v22, v15, v4
	v_mov_b32_e32 v4, 0
	s_waitcnt lgkmcnt(0)
	; wave barrier
	ds_read_b32 v23, v4 offset:1184
	v_cndmask_b32_e64 v22, v22, 0, s[0:1]
	s_waitcnt lgkmcnt(0)
	v_lshl_add_u32 v22, v23, 16, v22
	v_add_u32_e32 v23, v22, v5
	v_add_u32_e32 v5, v23, v6
	v_add_u32_e32 v6, v5, v7
	v_add_u32_e32 v7, v6, v8
	v_add_u32_e32 v8, v7, v1
	v_add_u32_e32 v1, v8, v2
	v_add_u32_e32 v2, v1, v3
	ds_write2_b64 v13, v[22:23], v[5:6] offset1:1
	ds_write2_b64 v13, v[7:8], v[1:2] offset0:2 offset1:3
	s_waitcnt lgkmcnt(0)
	; wave barrier
	ds_read_u16 v1, v21
	v_mov_b32_e32 v2, 2
	v_lshlrev_b32_sdwa v2, v2, v20 dst_sel:DWORD dst_unused:UNUSED_PAD src0_sel:DWORD src1_sel:WORD_0
	s_waitcnt lgkmcnt(0)
	; wave barrier
	v_lshl_add_u32 v1, v1, 2, v2
	ds_write_b32 v1, v18
	s_waitcnt lgkmcnt(0)
	; wave barrier
	ds_read_b32 v18, v17
	s_waitcnt lgkmcnt(0)
	; wave barrier
	ds_write_b32 v1, v19
	s_waitcnt lgkmcnt(0)
	; wave barrier
	ds_read_b32 v19, v17
	s_waitcnt lgkmcnt(0)
	; wave barrier
	s_and_saveexec_b64 s[18:19], s[16:17]
	s_cbranch_execz .LBB48_94
; %bb.86:
	s_movk_i32 s20, 0x103
	v_cmp_gt_u32_e32 vcc, s20, v0
	ds_write_b32 v16, v4
	s_and_b64 exec, exec, vcc
	s_cbranch_execz .LBB48_94
; %bb.87:
	s_movk_i32 s20, 0xde
	v_mov_b32_e32 v1, 0
	v_cmp_gt_u32_e32 vcc, s20, v0
	ds_write_b32 v16, v1 offset:148
	s_and_b64 exec, exec, vcc
	s_cbranch_execz .LBB48_94
; %bb.88:
	s_movk_i32 s20, 0xb9
	v_cmp_gt_u32_e32 vcc, s20, v0
	ds_write_b32 v16, v1 offset:296
	s_and_b64 exec, exec, vcc
	s_cbranch_execz .LBB48_94
; %bb.89:
	s_movk_i32 s20, 0x94
	v_mov_b32_e32 v1, 0
	v_cmp_gt_u32_e32 vcc, s20, v0
	ds_write_b32 v16, v1 offset:444
	s_and_b64 exec, exec, vcc
	s_cbranch_execz .LBB48_94
; %bb.90:
	s_movk_i32 s20, 0x6f
	v_cmp_gt_u32_e32 vcc, s20, v0
	ds_write_b32 v16, v1 offset:592
	s_and_b64 exec, exec, vcc
	s_cbranch_execz .LBB48_94
; %bb.91:
	s_movk_i32 s20, 0x4a
	v_mov_b32_e32 v1, 0
	v_cmp_gt_u32_e32 vcc, s20, v0
	ds_write_b32 v16, v1 offset:740
	s_and_b64 exec, exec, vcc
	s_cbranch_execz .LBB48_94
; %bb.92:
	v_cmp_gt_u32_e32 vcc, 37, v0
	ds_write_b32 v16, v1 offset:888
	s_and_b64 exec, exec, vcc
; %bb.93:
	v_mov_b32_e32 v1, 0
	ds_write_b32 v16, v1 offset:1036
.LBB48_94:
	s_or_b64 exec, exec, s[18:19]
	s_brev_b32 s18, -2
	v_cmp_ne_u32_e32 vcc, s18, v18
	v_mov_b32_e32 v1, 0x80
	v_cndmask_b32_sdwa v1, v1, v18, vcc dst_sel:DWORD dst_unused:UNUSED_PAD src0_sel:DWORD src1_sel:BYTE_3
	v_and_b32_e32 v2, 7, v1
	v_lshrrev_b32_e32 v1, 2, v1
	v_mad_u32_u24 v2, v2, 37, v0
	v_and_b32_e32 v1, 2, v1
	v_lshl_or_b32 v21, v2, 2, v1
	ds_read_u16 v20, v21
	s_waitcnt lgkmcnt(0)
	v_add_u16_e32 v1, 1, v20
	ds_write_b16 v21, v1
	s_waitcnt lgkmcnt(0)
	; wave barrier
	ds_read2_b64 v[5:8], v13 offset1:1
	ds_read2_b64 v[1:4], v13 offset0:2 offset1:3
	s_waitcnt lgkmcnt(1)
	v_add_u32_e32 v22, v6, v5
	v_add3_u32 v22, v22, v7, v8
	s_waitcnt lgkmcnt(0)
	v_add3_u32 v22, v22, v1, v2
	v_add3_u32 v4, v22, v3, v4
	s_nop 1
	v_mov_b32_dpp v22, v4 row_shr:1 row_mask:0xf bank_mask:0xf
	v_cndmask_b32_e64 v22, v22, 0, s[14:15]
	v_add_u32_e32 v4, v22, v4
	s_nop 1
	v_mov_b32_dpp v22, v4 row_shr:2 row_mask:0xf bank_mask:0xf
	v_cndmask_b32_e64 v22, 0, v22, s[12:13]
	v_add_u32_e32 v4, v4, v22
	;; [unrolled: 4-line block ×4, first 2 shown]
	s_nop 1
	v_mov_b32_dpp v22, v4 row_bcast:15 row_mask:0xf bank_mask:0xf
	v_cndmask_b32_e64 v22, v22, 0, s[6:7]
	v_add_u32_e32 v4, v4, v22
	s_nop 1
	v_mov_b32_dpp v22, v4 row_bcast:31 row_mask:0xf bank_mask:0xf
	v_cndmask_b32_e64 v22, 0, v22, s[4:5]
	v_add_u32_e32 v4, v4, v22
	s_and_saveexec_b64 s[18:19], s[2:3]
; %bb.95:
	v_mov_b32_e32 v22, 0
	ds_write_b32 v22, v4 offset:1184
; %bb.96:
	s_or_b64 exec, exec, s[18:19]
	ds_bpermute_b32 v22, v15, v4
	v_mov_b32_e32 v4, 0
	s_waitcnt lgkmcnt(0)
	; wave barrier
	ds_read_b32 v23, v4 offset:1184
	v_cndmask_b32_e64 v22, v22, 0, s[0:1]
	s_waitcnt lgkmcnt(0)
	v_lshl_add_u32 v22, v23, 16, v22
	v_add_u32_e32 v23, v22, v5
	v_add_u32_e32 v5, v23, v6
	;; [unrolled: 1-line block ×7, first 2 shown]
	ds_write2_b64 v13, v[22:23], v[5:6] offset1:1
	ds_write2_b64 v13, v[7:8], v[1:2] offset0:2 offset1:3
	s_waitcnt lgkmcnt(0)
	; wave barrier
	ds_read_u16 v1, v21
	v_mov_b32_e32 v2, 2
	v_lshlrev_b32_sdwa v2, v2, v20 dst_sel:DWORD dst_unused:UNUSED_PAD src0_sel:DWORD src1_sel:WORD_0
	s_waitcnt lgkmcnt(0)
	; wave barrier
	v_lshl_add_u32 v1, v1, 2, v2
	ds_write_b32 v1, v18
	s_waitcnt lgkmcnt(0)
	; wave barrier
	ds_read_b32 v8, v17
	s_waitcnt lgkmcnt(0)
	; wave barrier
	ds_write_b32 v1, v19
	s_waitcnt lgkmcnt(0)
	; wave barrier
	ds_read_b32 v18, v17
	s_waitcnt lgkmcnt(0)
	; wave barrier
	s_and_saveexec_b64 s[18:19], s[16:17]
	s_cbranch_execz .LBB48_105
; %bb.97:
	s_movk_i32 s16, 0x103
	v_cmp_gt_u32_e32 vcc, s16, v0
	ds_write_b32 v16, v4
	s_and_b64 exec, exec, vcc
	s_cbranch_execz .LBB48_105
; %bb.98:
	s_movk_i32 s16, 0xde
	v_mov_b32_e32 v1, 0
	v_cmp_gt_u32_e32 vcc, s16, v0
	ds_write_b32 v16, v1 offset:148
	s_and_b64 exec, exec, vcc
	s_cbranch_execz .LBB48_105
; %bb.99:
	s_movk_i32 s16, 0xb9
	v_cmp_gt_u32_e32 vcc, s16, v0
	ds_write_b32 v16, v1 offset:296
	s_and_b64 exec, exec, vcc
	s_cbranch_execz .LBB48_105
; %bb.100:
	s_movk_i32 s16, 0x94
	v_mov_b32_e32 v1, 0
	v_cmp_gt_u32_e32 vcc, s16, v0
	ds_write_b32 v16, v1 offset:444
	s_and_b64 exec, exec, vcc
	s_cbranch_execz .LBB48_105
; %bb.101:
	s_movk_i32 s16, 0x6f
	v_cmp_gt_u32_e32 vcc, s16, v0
	ds_write_b32 v16, v1 offset:592
	s_and_b64 exec, exec, vcc
	s_cbranch_execz .LBB48_105
; %bb.102:
	s_movk_i32 s16, 0x4a
	v_mov_b32_e32 v1, 0
	v_cmp_gt_u32_e32 vcc, s16, v0
	ds_write_b32 v16, v1 offset:740
	s_and_b64 exec, exec, vcc
	s_cbranch_execz .LBB48_105
; %bb.103:
	v_cmp_gt_u32_e32 vcc, 37, v0
	ds_write_b32 v16, v1 offset:888
	s_and_b64 exec, exec, vcc
; %bb.104:
	v_mov_b32_e32 v1, 0
	ds_write_b32 v16, v1 offset:1036
.LBB48_105:
	s_or_b64 exec, exec, s[18:19]
	s_brev_b32 s16, -2
	v_lshrrev_b32_e32 v1, 28, v8
	v_cmp_ne_u32_e32 vcc, s16, v8
	v_cndmask_b32_e32 v1, 8, v1, vcc
	v_and_b32_e32 v2, 7, v1
	v_lshrrev_b32_e32 v1, 2, v1
	v_mad_u32_u24 v0, v2, 37, v0
	v_and_b32_e32 v1, 2, v1
	v_lshl_or_b32 v19, v0, 2, v1
	ds_read_u16 v16, v19
	s_waitcnt lgkmcnt(0)
	v_add_u16_e32 v0, 1, v16
	ds_write_b16 v19, v0
	s_waitcnt lgkmcnt(0)
	; wave barrier
	ds_read2_b64 v[4:7], v13 offset1:1
	ds_read2_b64 v[0:3], v13 offset0:2 offset1:3
	s_waitcnt lgkmcnt(1)
	v_add_u32_e32 v20, v5, v4
	v_add3_u32 v20, v20, v6, v7
	s_waitcnt lgkmcnt(0)
	v_add3_u32 v20, v20, v0, v1
	v_add3_u32 v3, v20, v2, v3
	s_nop 1
	v_mov_b32_dpp v20, v3 row_shr:1 row_mask:0xf bank_mask:0xf
	v_cndmask_b32_e64 v20, v20, 0, s[14:15]
	v_add_u32_e32 v3, v20, v3
	s_nop 1
	v_mov_b32_dpp v20, v3 row_shr:2 row_mask:0xf bank_mask:0xf
	v_cndmask_b32_e64 v20, 0, v20, s[12:13]
	v_add_u32_e32 v3, v3, v20
	;; [unrolled: 4-line block ×4, first 2 shown]
	s_nop 1
	v_mov_b32_dpp v20, v3 row_bcast:15 row_mask:0xf bank_mask:0xf
	v_cndmask_b32_e64 v20, v20, 0, s[6:7]
	v_add_u32_e32 v3, v3, v20
	s_nop 1
	v_mov_b32_dpp v20, v3 row_bcast:31 row_mask:0xf bank_mask:0xf
	v_cndmask_b32_e64 v20, 0, v20, s[4:5]
	v_add_u32_e32 v3, v3, v20
	s_and_saveexec_b64 s[4:5], s[2:3]
; %bb.106:
	v_mov_b32_e32 v20, 0
	ds_write_b32 v20, v3 offset:1184
; %bb.107:
	s_or_b64 exec, exec, s[4:5]
	ds_bpermute_b32 v3, v15, v3
	v_mov_b32_e32 v15, 0
	s_waitcnt lgkmcnt(0)
	; wave barrier
	ds_read_b32 v15, v15 offset:1184
	v_cndmask_b32_e64 v3, v3, 0, s[0:1]
	s_waitcnt lgkmcnt(0)
	v_lshl_add_u32 v3, v15, 16, v3
	v_add_u32_e32 v4, v3, v4
	v_add_u32_e32 v5, v4, v5
	v_add_u32_e32 v6, v5, v6
	v_add_u32_e32 v20, v6, v7
	v_add_u32_e32 v21, v20, v0
	v_add_u32_e32 v0, v21, v1
	v_add_u32_e32 v1, v0, v2
	ds_write2_b64 v13, v[3:4], v[5:6] offset1:1
	ds_write2_b64 v13, v[20:21], v[0:1] offset0:2 offset1:3
	s_waitcnt lgkmcnt(0)
	; wave barrier
	ds_read_u16 v0, v19
	v_mov_b32_e32 v1, 2
	v_lshlrev_b32_sdwa v1, v1, v16 dst_sel:DWORD dst_unused:UNUSED_PAD src0_sel:DWORD src1_sel:WORD_0
	s_waitcnt lgkmcnt(0)
	; wave barrier
	v_lshl_add_u32 v0, v0, 2, v1
	ds_write_b32 v0, v8
	s_waitcnt lgkmcnt(0)
	; wave barrier
	ds_read_b32 v2, v17
	s_waitcnt lgkmcnt(0)
	; wave barrier
	ds_write_b32 v0, v18
	s_waitcnt lgkmcnt(0)
	; wave barrier
.LBB48_108:
	v_add_u32_e32 v0, v13, v14
	ds_read_b32 v0, v0
	v_bfrev_b32_e32 v1, 1
	v_cmp_lt_i32_e32 vcc, -1, v2
	v_cndmask_b32_e64 v1, v1, -1, vcc
	v_xor_b32_e32 v1, v1, v2
	global_store_dword v[9:10], v1, off
	s_waitcnt lgkmcnt(0)
	global_store_dword v[11:12], v0, off
	s_endpgm
	.section	.rodata,"a",@progbits
	.p2align	6, 0x0
	.amdhsa_kernel _Z21sort_key_value_kernelILj37ELj1ELb0ELb0EfiEvPT3_PT4_jj
		.amdhsa_group_segment_fixed_size 1200
		.amdhsa_private_segment_fixed_size 0
		.amdhsa_kernarg_size 24
		.amdhsa_user_sgpr_count 6
		.amdhsa_user_sgpr_private_segment_buffer 1
		.amdhsa_user_sgpr_dispatch_ptr 0
		.amdhsa_user_sgpr_queue_ptr 0
		.amdhsa_user_sgpr_kernarg_segment_ptr 1
		.amdhsa_user_sgpr_dispatch_id 0
		.amdhsa_user_sgpr_flat_scratch_init 0
		.amdhsa_user_sgpr_private_segment_size 0
		.amdhsa_uses_dynamic_stack 0
		.amdhsa_system_sgpr_private_segment_wavefront_offset 0
		.amdhsa_system_sgpr_workgroup_id_x 1
		.amdhsa_system_sgpr_workgroup_id_y 0
		.amdhsa_system_sgpr_workgroup_id_z 0
		.amdhsa_system_sgpr_workgroup_info 0
		.amdhsa_system_vgpr_workitem_id 0
		.amdhsa_next_free_vgpr 27
		.amdhsa_next_free_sgpr 42
		.amdhsa_reserve_vcc 1
		.amdhsa_reserve_flat_scratch 0
		.amdhsa_float_round_mode_32 0
		.amdhsa_float_round_mode_16_64 0
		.amdhsa_float_denorm_mode_32 3
		.amdhsa_float_denorm_mode_16_64 3
		.amdhsa_dx10_clamp 1
		.amdhsa_ieee_mode 1
		.amdhsa_fp16_overflow 0
		.amdhsa_exception_fp_ieee_invalid_op 0
		.amdhsa_exception_fp_denorm_src 0
		.amdhsa_exception_fp_ieee_div_zero 0
		.amdhsa_exception_fp_ieee_overflow 0
		.amdhsa_exception_fp_ieee_underflow 0
		.amdhsa_exception_fp_ieee_inexact 0
		.amdhsa_exception_int_div_zero 0
	.end_amdhsa_kernel
	.section	.text._Z21sort_key_value_kernelILj37ELj1ELb0ELb0EfiEvPT3_PT4_jj,"axG",@progbits,_Z21sort_key_value_kernelILj37ELj1ELb0ELb0EfiEvPT3_PT4_jj,comdat
.Lfunc_end48:
	.size	_Z21sort_key_value_kernelILj37ELj1ELb0ELb0EfiEvPT3_PT4_jj, .Lfunc_end48-_Z21sort_key_value_kernelILj37ELj1ELb0ELb0EfiEvPT3_PT4_jj
                                        ; -- End function
	.set _Z21sort_key_value_kernelILj37ELj1ELb0ELb0EfiEvPT3_PT4_jj.num_vgpr, 27
	.set _Z21sort_key_value_kernelILj37ELj1ELb0ELb0EfiEvPT3_PT4_jj.num_agpr, 0
	.set _Z21sort_key_value_kernelILj37ELj1ELb0ELb0EfiEvPT3_PT4_jj.numbered_sgpr, 42
	.set _Z21sort_key_value_kernelILj37ELj1ELb0ELb0EfiEvPT3_PT4_jj.num_named_barrier, 0
	.set _Z21sort_key_value_kernelILj37ELj1ELb0ELb0EfiEvPT3_PT4_jj.private_seg_size, 0
	.set _Z21sort_key_value_kernelILj37ELj1ELb0ELb0EfiEvPT3_PT4_jj.uses_vcc, 1
	.set _Z21sort_key_value_kernelILj37ELj1ELb0ELb0EfiEvPT3_PT4_jj.uses_flat_scratch, 0
	.set _Z21sort_key_value_kernelILj37ELj1ELb0ELb0EfiEvPT3_PT4_jj.has_dyn_sized_stack, 0
	.set _Z21sort_key_value_kernelILj37ELj1ELb0ELb0EfiEvPT3_PT4_jj.has_recursion, 0
	.set _Z21sort_key_value_kernelILj37ELj1ELb0ELb0EfiEvPT3_PT4_jj.has_indirect_call, 0
	.section	.AMDGPU.csdata,"",@progbits
; Kernel info:
; codeLenInByte = 6428
; TotalNumSgprs: 46
; NumVgprs: 27
; ScratchSize: 0
; MemoryBound: 0
; FloatMode: 240
; IeeeMode: 1
; LDSByteSize: 1200 bytes/workgroup (compile time only)
; SGPRBlocks: 5
; VGPRBlocks: 6
; NumSGPRsForWavesPerEU: 46
; NumVGPRsForWavesPerEU: 27
; Occupancy: 9
; WaveLimiterHint : 0
; COMPUTE_PGM_RSRC2:SCRATCH_EN: 0
; COMPUTE_PGM_RSRC2:USER_SGPR: 6
; COMPUTE_PGM_RSRC2:TRAP_HANDLER: 0
; COMPUTE_PGM_RSRC2:TGID_X_EN: 1
; COMPUTE_PGM_RSRC2:TGID_Y_EN: 0
; COMPUTE_PGM_RSRC2:TGID_Z_EN: 0
; COMPUTE_PGM_RSRC2:TIDIG_COMP_CNT: 0
	.section	.text._Z21sort_key_value_kernelILj65ELj1ELb0ELb0EdjEvPT3_PT4_jj,"axG",@progbits,_Z21sort_key_value_kernelILj65ELj1ELb0ELb0EdjEvPT3_PT4_jj,comdat
	.protected	_Z21sort_key_value_kernelILj65ELj1ELb0ELb0EdjEvPT3_PT4_jj ; -- Begin function _Z21sort_key_value_kernelILj65ELj1ELb0ELb0EdjEvPT3_PT4_jj
	.globl	_Z21sort_key_value_kernelILj65ELj1ELb0ELb0EdjEvPT3_PT4_jj
	.p2align	8
	.type	_Z21sort_key_value_kernelILj65ELj1ELb0ELb0EdjEvPT3_PT4_jj,@function
_Z21sort_key_value_kernelILj65ELj1ELb0ELb0EdjEvPT3_PT4_jj: ; @_Z21sort_key_value_kernelILj65ELj1ELb0ELb0EdjEvPT3_PT4_jj
; %bb.0:
	s_load_dwordx4 s[0:3], s[4:5], 0x0
	s_load_dwordx2 s[44:45], s[4:5], 0x10
	s_mul_i32 s4, s6, 0x41
	s_mov_b32 s5, 0
	s_lshl_b64 s[6:7], s[4:5], 3
	s_waitcnt lgkmcnt(0)
	s_add_u32 s40, s0, s6
	s_addc_u32 s41, s1, s7
	v_lshlrev_b32_e32 v13, 3, v0
	global_load_dwordx2 v[3:4], v13, s[40:41]
	s_lshl_b64 s[0:1], s[4:5], 2
	s_add_u32 s42, s2, s0
	s_addc_u32 s43, s3, s1
	v_lshlrev_b32_e32 v14, 2, v0
	global_load_dword v24, v14, s[42:43]
	v_mbcnt_lo_u32_b32 v5, -1, 0
	v_cmp_gt_u32_e32 vcc, 64, v0
	s_cmp_eq_u32 s44, 0
	v_mbcnt_hi_u32_b32 v5, -1, v5
	v_cndmask_b32_e64 v6, 64, 63, vcc
	s_cselect_b64 s[24:25], -1, 0
	s_cmp_eq_u32 s45, 64
	v_cmp_eq_u32_e64 s[8:9], v0, v6
	v_subrev_co_u32_e64 v6, s[10:11], 1, v5
	v_and_b32_e32 v10, 64, v5
	s_cselect_b64 s[28:29], -1, 0
	v_lshrrev_b32_e32 v7, 4, v0
	v_cmp_lt_i32_e32 vcc, v6, v10
	s_and_b64 s[24:25], s[24:25], s[28:29]
	v_and_b32_e32 v8, 15, v5
	v_and_b32_e32 v9, 16, v5
	v_cmp_lt_u32_e64 s[6:7], 31, v5
	v_and_b32_e32 v20, 4, v7
	v_and_b32_e32 v7, 1, v5
	v_cndmask_b32_e32 v5, v6, v5, vcc
	s_and_b64 vcc, exec, s[24:25]
	v_bfrev_b32_e32 v16, 1
	s_movk_i32 s12, 0xffe4
	v_lshlrev_b32_e32 v19, 5, v0
	s_movk_i32 s0, 0x208
	v_mad_i32_i24 v21, v0, s12, v19
	v_lshlrev_b32_e32 v23, 2, v5
	s_movk_i32 s33, 0x41
	v_mov_b32_e32 v15, 0
	s_mov_b64 s[26:27], -1
	s_mov_b32 s46, -1
	v_cmp_gt_u32_e64 s[0:1], s0, v0
	v_cmp_lt_u32_e64 s[2:3], 63, v0
	v_cmp_gt_u32_e64 s[4:5], 2, v0
	v_sub_u32_e32 v17, 0, v14
	v_cmp_eq_u32_e64 s[12:13], 0, v8
	v_cmp_lt_u32_e64 s[14:15], 1, v8
	v_cmp_lt_u32_e64 s[16:17], 3, v8
	;; [unrolled: 1-line block ×3, first 2 shown]
	v_cmp_eq_u32_e64 s[20:21], 0, v9
	v_cmp_eq_u32_e64 s[22:23], 0, v7
	v_add_u32_e32 v22, v21, v14
	v_mov_b32_e32 v25, s41
	v_mov_b32_e32 v18, s43
                                        ; implicit-def: $vgpr1_vgpr2
	s_waitcnt vmcnt(1)
	v_cmp_lt_i64_e64 s[24:25], -1, v[3:4]
	v_ashrrev_i32_e32 v6, 31, v4
	v_cndmask_b32_e64 v5, -1, v16, s[24:25]
	v_xor_b32_e32 v10, v5, v4
	v_xor_b32_e32 v9, v6, v3
	s_cbranch_vccnz .LBB49_21
; %bb.1:
	s_movk_i32 s24, 0x1c7
	s_movk_i32 s26, 0x186
	;; [unrolled: 1-line block ×6, first 2 shown]
	s_sub_i32 s41, s45, s44
	v_mov_b32_e32 v1, v9
	v_cmp_gt_u32_e64 s[24:25], s24, v0
	v_cmp_gt_u32_e64 s[26:27], s26, v0
	;; [unrolled: 1-line block ×7, first 2 shown]
	v_mov_b32_e32 v27, s41
	s_brev_b32 s47, -2
	s_waitcnt vmcnt(0)
	v_mov_b32_e32 v5, v24
	v_mov_b32_e32 v2, v10
	s_branch .LBB49_3
.LBB49_2:                               ;   in Loop: Header=BB49_3 Depth=1
	s_andn2_b64 vcc, exec, s[48:49]
	s_cbranch_vccz .LBB49_20
.LBB49_3:                               ; =>This Inner Loop Header: Depth=1
	v_mov_b32_e32 v12, v2
	v_mov_b32_e32 v11, v1
	;; [unrolled: 1-line block ×3, first 2 shown]
	s_and_saveexec_b64 s[48:49], s[0:1]
	s_cbranch_execz .LBB49_12
; %bb.4:                                ;   in Loop: Header=BB49_3 Depth=1
	ds_write_b32 v14, v15
	s_and_b64 exec, exec, s[24:25]
	s_cbranch_execz .LBB49_12
; %bb.5:                                ;   in Loop: Header=BB49_3 Depth=1
	ds_write_b32 v14, v15 offset:260
	s_and_b64 exec, exec, s[26:27]
	s_cbranch_execz .LBB49_12
; %bb.6:                                ;   in Loop: Header=BB49_3 Depth=1
	ds_write_b32 v14, v15 offset:520
	;; [unrolled: 4-line block ×5, first 2 shown]
	s_and_b64 exec, exec, s[36:37]
	s_cbranch_execz .LBB49_12
; %bb.10:                               ;   in Loop: Header=BB49_3 Depth=1
	ds_write_b32 v14, v15 offset:1560
	s_and_b64 exec, exec, s[38:39]
; %bb.11:                               ;   in Loop: Header=BB49_3 Depth=1
	ds_write_b32 v14, v15 offset:1820
.LBB49_12:                              ;   in Loop: Header=BB49_3 Depth=1
	s_or_b64 exec, exec, s[48:49]
	v_cmp_ne_u64_e32 vcc, s[46:47], v[11:12]
	v_cndmask_b32_e32 v2, v16, v12, vcc
	v_cndmask_b32_e32 v1, 0, v11, vcc
	v_lshrrev_b64 v[1:2], s44, v[1:2]
	v_min_u32_e32 v2, 4, v27
	v_bfe_u32 v1, v1, 0, v2
	v_and_b32_e32 v2, 7, v1
	v_lshrrev_b32_e32 v1, 2, v1
	v_mad_u32_u24 v2, v2, s33, v0
	v_and_b32_e32 v1, 30, v1
	v_lshl_add_u32 v29, v2, 2, v1
	ds_read_u16 v28, v29
	s_waitcnt lgkmcnt(0)
	v_add_u16_e32 v1, 1, v28
	ds_write_b16 v29, v1
	s_waitcnt lgkmcnt(0)
	s_barrier
	ds_read2_b64 v[5:8], v19 offset1:1
	ds_read2_b64 v[1:4], v19 offset0:2 offset1:3
	s_waitcnt lgkmcnt(1)
	v_add_u32_e32 v30, v6, v5
	v_add3_u32 v30, v30, v7, v8
	s_waitcnt lgkmcnt(0)
	v_add3_u32 v30, v30, v1, v2
	v_add3_u32 v4, v30, v3, v4
	s_nop 1
	v_mov_b32_dpp v30, v4 row_shr:1 row_mask:0xf bank_mask:0xf
	v_cndmask_b32_e64 v30, v30, 0, s[12:13]
	v_add_u32_e32 v4, v30, v4
	s_nop 1
	v_mov_b32_dpp v30, v4 row_shr:2 row_mask:0xf bank_mask:0xf
	v_cndmask_b32_e64 v30, 0, v30, s[14:15]
	v_add_u32_e32 v4, v4, v30
	;; [unrolled: 4-line block ×4, first 2 shown]
	s_nop 1
	v_mov_b32_dpp v30, v4 row_bcast:15 row_mask:0xf bank_mask:0xf
	v_cndmask_b32_e64 v30, v30, 0, s[20:21]
	v_add_u32_e32 v4, v4, v30
	s_nop 1
	v_mov_b32_dpp v30, v4 row_bcast:31 row_mask:0xf bank_mask:0xf
	v_cndmask_b32_e64 v30, 0, v30, s[6:7]
	v_add_u32_e32 v4, v4, v30
	s_and_saveexec_b64 s[48:49], s[8:9]
; %bb.13:                               ;   in Loop: Header=BB49_3 Depth=1
	ds_write_b32 v20, v4 offset:2080
; %bb.14:                               ;   in Loop: Header=BB49_3 Depth=1
	s_or_b64 exec, exec, s[48:49]
	s_waitcnt lgkmcnt(0)
	s_barrier
	s_and_saveexec_b64 s[48:49], s[4:5]
	s_cbranch_execz .LBB49_16
; %bb.15:                               ;   in Loop: Header=BB49_3 Depth=1
	ds_read_b32 v30, v21 offset:2080
	s_waitcnt lgkmcnt(0)
	s_nop 0
	v_mov_b32_dpp v31, v30 row_shr:1 row_mask:0xf bank_mask:0xf
	v_cndmask_b32_e64 v31, v31, 0, s[22:23]
	v_add_u32_e32 v30, v31, v30
	ds_write_b32 v21, v30 offset:2080
.LBB49_16:                              ;   in Loop: Header=BB49_3 Depth=1
	s_or_b64 exec, exec, s[48:49]
	v_mov_b32_e32 v30, 0
	s_waitcnt lgkmcnt(0)
	s_barrier
	s_and_saveexec_b64 s[48:49], s[2:3]
; %bb.17:                               ;   in Loop: Header=BB49_3 Depth=1
	ds_read_b32 v30, v20 offset:2076
; %bb.18:                               ;   in Loop: Header=BB49_3 Depth=1
	s_or_b64 exec, exec, s[48:49]
	s_waitcnt lgkmcnt(0)
	v_add_u32_e32 v4, v30, v4
	ds_bpermute_b32 v4, v23, v4
	ds_read_b32 v31, v15 offset:2084
	s_add_i32 s44, s44, 4
	s_cmp_ge_u32 s44, s45
	s_mov_b64 s[48:49], -1
	s_waitcnt lgkmcnt(1)
	v_cndmask_b32_e64 v4, v4, v30, s[10:11]
	s_waitcnt lgkmcnt(0)
	v_lshl_add_u32 v4, v31, 16, v4
	v_add_u32_e32 v5, v4, v5
	v_add_u32_e32 v6, v5, v6
	;; [unrolled: 1-line block ×7, first 2 shown]
	ds_write2_b64 v19, v[4:5], v[6:7] offset1:1
	ds_write2_b64 v19, v[30:31], v[1:2] offset0:2 offset1:3
	s_waitcnt lgkmcnt(0)
	s_barrier
	ds_read_u16 v1, v29
	s_waitcnt lgkmcnt(0)
                                        ; implicit-def: $vgpr5
	v_add_u32_sdwa v1, v1, v28 dst_sel:DWORD dst_unused:UNUSED_PAD src0_sel:DWORD src1_sel:WORD_0
	v_lshlrev_b32_e32 v3, 3, v1
	v_lshlrev_b32_e32 v1, 2, v1
	v_sub_u32_e32 v4, 0, v1
                                        ; implicit-def: $vgpr1_vgpr2
	s_cbranch_scc1 .LBB49_2
; %bb.19:                               ;   in Loop: Header=BB49_3 Depth=1
	v_add_u32_e32 v5, v3, v4
	s_barrier
	ds_write_b64 v3, v[11:12]
	s_waitcnt lgkmcnt(0)
	s_barrier
	ds_read_b64 v[1:2], v22
	s_waitcnt lgkmcnt(0)
	s_barrier
	ds_write_b32 v5, v26
	v_add_u32_e32 v5, v22, v17
	s_waitcnt lgkmcnt(0)
	s_barrier
	ds_read_b32 v5, v5
	v_add_u32_e32 v27, -4, v27
	s_mov_b64 s[48:49], 0
	s_waitcnt lgkmcnt(0)
	s_barrier
	s_branch .LBB49_2
.LBB49_20:
	s_barrier
	ds_write_b64 v3, v[11:12]
	s_waitcnt lgkmcnt(0)
	s_barrier
	ds_read_b64 v[1:2], v22
	v_add_u32_e32 v3, v3, v4
	s_mov_b64 s[26:27], 0
	s_waitcnt lgkmcnt(0)
	s_barrier
	ds_write_b32 v3, v26
	s_waitcnt lgkmcnt(0)
	s_barrier
.LBB49_21:
	v_add_co_u32_e32 v11, vcc, s40, v13
	v_addc_co_u32_e32 v12, vcc, 0, v25, vcc
	v_add_co_u32_e32 v13, vcc, s42, v14
	v_addc_co_u32_e32 v14, vcc, 0, v18, vcc
	s_and_b64 vcc, exec, s[26:27]
	v_add_u32_e32 v25, v22, v17
	s_cbranch_vccz .LBB49_42
; %bb.22:
	s_movk_i32 s33, 0xc3
	v_cmp_gt_u32_e64 s[34:35], s33, v0
	s_movk_i32 s33, 0x82
	s_movk_i32 s24, 0x1c7
	;; [unrolled: 1-line block ×5, first 2 shown]
	v_cmp_gt_u32_e64 s[36:37], s33, v0
	s_movk_i32 s33, 0x41
	v_mov_b32_e32 v15, 0
	s_mov_b32 s40, -1
	v_cmp_gt_u32_e64 s[24:25], s24, v0
	v_cmp_gt_u32_e64 s[26:27], s26, v0
	;; [unrolled: 1-line block ×5, first 2 shown]
	v_mov_b32_e32 v16, 0
	v_mov_b32_e32 v27, 0
	s_brev_b32 s41, -2
	v_bfrev_b32_e32 v28, 1
	s_branch .LBB49_24
.LBB49_23:                              ;   in Loop: Header=BB49_24 Depth=1
	s_andn2_b64 vcc, exec, s[42:43]
	s_cbranch_vccz .LBB49_41
.LBB49_24:                              ; =>This Inner Loop Header: Depth=1
	v_mov_b32_e32 v18, v10
	v_mov_b32_e32 v17, v9
	s_waitcnt vmcnt(0)
	v_mov_b32_e32 v26, v24
	s_and_saveexec_b64 s[42:43], s[0:1]
	s_cbranch_execz .LBB49_33
; %bb.25:                               ;   in Loop: Header=BB49_24 Depth=1
	ds_write_b32 v25, v27
	s_and_b64 exec, exec, s[24:25]
	s_cbranch_execz .LBB49_33
; %bb.26:                               ;   in Loop: Header=BB49_24 Depth=1
	ds_write_b32 v25, v27 offset:260
	s_and_b64 exec, exec, s[26:27]
	s_cbranch_execz .LBB49_33
; %bb.27:                               ;   in Loop: Header=BB49_24 Depth=1
	ds_write_b32 v25, v27 offset:520
	s_and_b64 exec, exec, s[28:29]
	s_cbranch_execz .LBB49_33
; %bb.28:                               ;   in Loop: Header=BB49_24 Depth=1
	ds_write_b32 v25, v27 offset:780
	s_and_b64 exec, exec, s[30:31]
	s_cbranch_execz .LBB49_33
; %bb.29:                               ;   in Loop: Header=BB49_24 Depth=1
	ds_write_b32 v25, v27 offset:1040
	s_and_b64 exec, exec, s[34:35]
	s_cbranch_execz .LBB49_33
; %bb.30:                               ;   in Loop: Header=BB49_24 Depth=1
	ds_write_b32 v25, v27 offset:1300
	s_and_b64 exec, exec, s[36:37]
	s_cbranch_execz .LBB49_33
; %bb.31:                               ;   in Loop: Header=BB49_24 Depth=1
	ds_write_b32 v25, v27 offset:1560
	s_and_b64 exec, exec, s[38:39]
; %bb.32:                               ;   in Loop: Header=BB49_24 Depth=1
	ds_write_b32 v25, v27 offset:1820
.LBB49_33:                              ;   in Loop: Header=BB49_24 Depth=1
	s_or_b64 exec, exec, s[42:43]
	v_cmp_ne_u64_e32 vcc, s[40:41], v[17:18]
	v_cndmask_b32_e32 v2, v28, v18, vcc
	v_cndmask_b32_e32 v1, 0, v17, vcc
	v_lshrrev_b64 v[1:2], v15, v[1:2]
	v_and_b32_e32 v2, 7, v1
	v_lshrrev_b32_e32 v1, 2, v1
	v_mad_u32_u24 v2, v2, s33, v0
	v_and_b32_e32 v1, 2, v1
	v_lshl_or_b32 v10, v2, 2, v1
	ds_read_u16 v9, v10
	s_waitcnt lgkmcnt(0)
	v_add_u16_e32 v1, 1, v9
	ds_write_b16 v10, v1
	s_waitcnt lgkmcnt(0)
	s_barrier
	ds_read2_b64 v[5:8], v19 offset1:1
	ds_read2_b64 v[1:4], v19 offset0:2 offset1:3
	s_waitcnt lgkmcnt(1)
	v_add_u32_e32 v24, v6, v5
	v_add3_u32 v24, v24, v7, v8
	s_waitcnt lgkmcnt(0)
	v_add3_u32 v24, v24, v1, v2
	v_add3_u32 v4, v24, v3, v4
	s_nop 1
	v_mov_b32_dpp v24, v4 row_shr:1 row_mask:0xf bank_mask:0xf
	v_cndmask_b32_e64 v24, v24, 0, s[12:13]
	v_add_u32_e32 v4, v24, v4
	s_nop 1
	v_mov_b32_dpp v24, v4 row_shr:2 row_mask:0xf bank_mask:0xf
	v_cndmask_b32_e64 v24, 0, v24, s[14:15]
	v_add_u32_e32 v4, v4, v24
	;; [unrolled: 4-line block ×4, first 2 shown]
	s_nop 1
	v_mov_b32_dpp v24, v4 row_bcast:15 row_mask:0xf bank_mask:0xf
	v_cndmask_b32_e64 v24, v24, 0, s[20:21]
	v_add_u32_e32 v4, v4, v24
	s_nop 1
	v_mov_b32_dpp v24, v4 row_bcast:31 row_mask:0xf bank_mask:0xf
	v_cndmask_b32_e64 v24, 0, v24, s[6:7]
	v_add_u32_e32 v4, v4, v24
	s_and_saveexec_b64 s[42:43], s[8:9]
; %bb.34:                               ;   in Loop: Header=BB49_24 Depth=1
	ds_write_b32 v20, v4 offset:2080
; %bb.35:                               ;   in Loop: Header=BB49_24 Depth=1
	s_or_b64 exec, exec, s[42:43]
	s_waitcnt lgkmcnt(0)
	s_barrier
	s_and_saveexec_b64 s[42:43], s[4:5]
	s_cbranch_execz .LBB49_37
; %bb.36:                               ;   in Loop: Header=BB49_24 Depth=1
	ds_read_b32 v24, v21 offset:2080
	s_waitcnt lgkmcnt(0)
	s_nop 0
	v_mov_b32_dpp v29, v24 row_shr:1 row_mask:0xf bank_mask:0xf
	v_cndmask_b32_e64 v29, v29, 0, s[22:23]
	v_add_u32_e32 v24, v29, v24
	ds_write_b32 v21, v24 offset:2080
.LBB49_37:                              ;   in Loop: Header=BB49_24 Depth=1
	s_or_b64 exec, exec, s[42:43]
	v_mov_b32_e32 v24, 0
	s_waitcnt lgkmcnt(0)
	s_barrier
	s_and_saveexec_b64 s[42:43], s[2:3]
; %bb.38:                               ;   in Loop: Header=BB49_24 Depth=1
	ds_read_b32 v24, v20 offset:2076
; %bb.39:                               ;   in Loop: Header=BB49_24 Depth=1
	s_or_b64 exec, exec, s[42:43]
	s_waitcnt lgkmcnt(0)
	v_add_u32_e32 v4, v24, v4
	ds_bpermute_b32 v4, v23, v4
	ds_read_b32 v29, v27 offset:2084
	v_cmp_lt_u32_e32 vcc, 59, v15
	s_and_b64 vcc, exec, vcc
	s_mov_b64 s[42:43], -1
	s_waitcnt lgkmcnt(1)
	v_cndmask_b32_e64 v4, v4, v24, s[10:11]
	s_waitcnt lgkmcnt(0)
	v_lshl_add_u32 v4, v29, 16, v4
	v_add_u32_e32 v5, v4, v5
	v_add_u32_e32 v6, v5, v6
	;; [unrolled: 1-line block ×7, first 2 shown]
	ds_write2_b64 v19, v[4:5], v[6:7] offset1:1
	ds_write2_b64 v19, v[29:30], v[1:2] offset0:2 offset1:3
	s_waitcnt lgkmcnt(0)
	s_barrier
	ds_read_u16 v1, v10
                                        ; implicit-def: $vgpr24
	s_waitcnt lgkmcnt(0)
	v_add_u32_sdwa v3, v1, v9 dst_sel:DWORD dst_unused:UNUSED_PAD src0_sel:DWORD src1_sel:WORD_0
                                        ; implicit-def: $vgpr9_vgpr10
	s_cbranch_vccnz .LBB49_23
; %bb.40:                               ;   in Loop: Header=BB49_24 Depth=1
	v_lshlrev_b32_e32 v1, 3, v3
	v_lshlrev_b32_e32 v2, 2, v3
	s_barrier
	ds_write_b64 v1, v[17:18]
	v_sub_u32_e32 v1, v1, v2
	s_waitcnt lgkmcnt(0)
	s_barrier
	ds_read_b64 v[9:10], v22
	s_waitcnt lgkmcnt(0)
	s_barrier
	ds_write_b32 v1, v26
	s_waitcnt lgkmcnt(0)
	s_barrier
	ds_read_b32 v24, v25
	v_add_co_u32_e32 v15, vcc, 4, v15
	v_addc_co_u32_e32 v16, vcc, 0, v16, vcc
	s_mov_b64 s[42:43], 0
	s_waitcnt lgkmcnt(0)
	s_barrier
	s_branch .LBB49_23
.LBB49_41:
	v_lshlrev_b32_e32 v0, 3, v3
	s_barrier
	ds_write_b64 v0, v[17:18]
	s_waitcnt lgkmcnt(0)
	s_barrier
	ds_read_b64 v[1:2], v22
	v_lshlrev_b32_e32 v3, 2, v3
	v_sub_u32_e32 v0, v0, v3
	s_waitcnt lgkmcnt(0)
	s_barrier
	ds_write_b32 v0, v26
	s_waitcnt lgkmcnt(0)
	s_barrier
.LBB49_42:
	ds_read_b32 v0, v25
	v_cmp_lt_i64_e32 vcc, -1, v[1:2]
	v_bfrev_b32_e32 v3, 1
	v_ashrrev_i32_e32 v4, 31, v2
	v_cndmask_b32_e64 v3, v3, -1, vcc
	v_not_b32_e32 v4, v4
	v_xor_b32_e32 v2, v3, v2
	v_xor_b32_e32 v1, v4, v1
	global_store_dwordx2 v[11:12], v[1:2], off
	s_waitcnt lgkmcnt(0)
	global_store_dword v[13:14], v0, off
	s_endpgm
	.section	.rodata,"a",@progbits
	.p2align	6, 0x0
	.amdhsa_kernel _Z21sort_key_value_kernelILj65ELj1ELb0ELb0EdjEvPT3_PT4_jj
		.amdhsa_group_segment_fixed_size 2096
		.amdhsa_private_segment_fixed_size 0
		.amdhsa_kernarg_size 24
		.amdhsa_user_sgpr_count 6
		.amdhsa_user_sgpr_private_segment_buffer 1
		.amdhsa_user_sgpr_dispatch_ptr 0
		.amdhsa_user_sgpr_queue_ptr 0
		.amdhsa_user_sgpr_kernarg_segment_ptr 1
		.amdhsa_user_sgpr_dispatch_id 0
		.amdhsa_user_sgpr_flat_scratch_init 0
		.amdhsa_user_sgpr_private_segment_size 0
		.amdhsa_uses_dynamic_stack 0
		.amdhsa_system_sgpr_private_segment_wavefront_offset 0
		.amdhsa_system_sgpr_workgroup_id_x 1
		.amdhsa_system_sgpr_workgroup_id_y 0
		.amdhsa_system_sgpr_workgroup_id_z 0
		.amdhsa_system_sgpr_workgroup_info 0
		.amdhsa_system_vgpr_workitem_id 0
		.amdhsa_next_free_vgpr 32
		.amdhsa_next_free_sgpr 61
		.amdhsa_reserve_vcc 1
		.amdhsa_reserve_flat_scratch 0
		.amdhsa_float_round_mode_32 0
		.amdhsa_float_round_mode_16_64 0
		.amdhsa_float_denorm_mode_32 3
		.amdhsa_float_denorm_mode_16_64 3
		.amdhsa_dx10_clamp 1
		.amdhsa_ieee_mode 1
		.amdhsa_fp16_overflow 0
		.amdhsa_exception_fp_ieee_invalid_op 0
		.amdhsa_exception_fp_denorm_src 0
		.amdhsa_exception_fp_ieee_div_zero 0
		.amdhsa_exception_fp_ieee_overflow 0
		.amdhsa_exception_fp_ieee_underflow 0
		.amdhsa_exception_fp_ieee_inexact 0
		.amdhsa_exception_int_div_zero 0
	.end_amdhsa_kernel
	.section	.text._Z21sort_key_value_kernelILj65ELj1ELb0ELb0EdjEvPT3_PT4_jj,"axG",@progbits,_Z21sort_key_value_kernelILj65ELj1ELb0ELb0EdjEvPT3_PT4_jj,comdat
.Lfunc_end49:
	.size	_Z21sort_key_value_kernelILj65ELj1ELb0ELb0EdjEvPT3_PT4_jj, .Lfunc_end49-_Z21sort_key_value_kernelILj65ELj1ELb0ELb0EdjEvPT3_PT4_jj
                                        ; -- End function
	.set _Z21sort_key_value_kernelILj65ELj1ELb0ELb0EdjEvPT3_PT4_jj.num_vgpr, 32
	.set _Z21sort_key_value_kernelILj65ELj1ELb0ELb0EdjEvPT3_PT4_jj.num_agpr, 0
	.set _Z21sort_key_value_kernelILj65ELj1ELb0ELb0EdjEvPT3_PT4_jj.numbered_sgpr, 50
	.set _Z21sort_key_value_kernelILj65ELj1ELb0ELb0EdjEvPT3_PT4_jj.num_named_barrier, 0
	.set _Z21sort_key_value_kernelILj65ELj1ELb0ELb0EdjEvPT3_PT4_jj.private_seg_size, 0
	.set _Z21sort_key_value_kernelILj65ELj1ELb0ELb0EdjEvPT3_PT4_jj.uses_vcc, 1
	.set _Z21sort_key_value_kernelILj65ELj1ELb0ELb0EdjEvPT3_PT4_jj.uses_flat_scratch, 0
	.set _Z21sort_key_value_kernelILj65ELj1ELb0ELb0EdjEvPT3_PT4_jj.has_dyn_sized_stack, 0
	.set _Z21sort_key_value_kernelILj65ELj1ELb0ELb0EdjEvPT3_PT4_jj.has_recursion, 0
	.set _Z21sort_key_value_kernelILj65ELj1ELb0ELb0EdjEvPT3_PT4_jj.has_indirect_call, 0
	.section	.AMDGPU.csdata,"",@progbits
; Kernel info:
; codeLenInByte = 2344
; TotalNumSgprs: 54
; NumVgprs: 32
; ScratchSize: 0
; MemoryBound: 0
; FloatMode: 240
; IeeeMode: 1
; LDSByteSize: 2096 bytes/workgroup (compile time only)
; SGPRBlocks: 8
; VGPRBlocks: 7
; NumSGPRsForWavesPerEU: 65
; NumVGPRsForWavesPerEU: 32
; Occupancy: 8
; WaveLimiterHint : 0
; COMPUTE_PGM_RSRC2:SCRATCH_EN: 0
; COMPUTE_PGM_RSRC2:USER_SGPR: 6
; COMPUTE_PGM_RSRC2:TRAP_HANDLER: 0
; COMPUTE_PGM_RSRC2:TGID_X_EN: 1
; COMPUTE_PGM_RSRC2:TGID_Y_EN: 0
; COMPUTE_PGM_RSRC2:TGID_Z_EN: 0
; COMPUTE_PGM_RSRC2:TIDIG_COMP_CNT: 0
	.section	.text._Z21sort_key_value_kernelILj1024ELj1ELb0ELb1EtcEvPT3_PT4_jj,"axG",@progbits,_Z21sort_key_value_kernelILj1024ELj1ELb0ELb1EtcEvPT3_PT4_jj,comdat
	.protected	_Z21sort_key_value_kernelILj1024ELj1ELb0ELb1EtcEvPT3_PT4_jj ; -- Begin function _Z21sort_key_value_kernelILj1024ELj1ELb0ELb1EtcEvPT3_PT4_jj
	.globl	_Z21sort_key_value_kernelILj1024ELj1ELb0ELb1EtcEvPT3_PT4_jj
	.p2align	8
	.type	_Z21sort_key_value_kernelILj1024ELj1ELb0ELb1EtcEvPT3_PT4_jj,@function
_Z21sort_key_value_kernelILj1024ELj1ELb0ELb1EtcEvPT3_PT4_jj: ; @_Z21sort_key_value_kernelILj1024ELj1ELb0ELb1EtcEvPT3_PT4_jj
; %bb.0:
	s_load_dwordx4 s[0:3], s[4:5], 0x0
	s_load_dwordx2 s[28:29], s[4:5], 0x10
	s_lshl_b32 s22, s6, 10
	s_mov_b32 s23, 0
	s_lshl_b64 s[6:7], s[22:23], 1
	s_waitcnt lgkmcnt(0)
	s_add_u32 s24, s0, s6
	s_addc_u32 s25, s1, s7
	v_lshlrev_b32_e32 v11, 1, v0
	s_add_u32 s26, s2, s22
	global_load_ushort v3, v11, s[24:25]
	s_addc_u32 s27, s3, 0
	global_load_ubyte v17, v0, s[26:27]
	s_load_dword s22, s[4:5], 0x24
	s_cmp_eq_u32 s28, 0
	s_cselect_b64 s[30:31], -1, 0
	s_cmp_eq_u32 s29, 16
	v_mov_b32_e32 v22, s25
	s_cselect_b64 s[34:35], -1, 0
	s_waitcnt lgkmcnt(0)
	s_lshr_b32 s25, s22, 16
	s_and_b32 s22, s22, 0xffff
	v_mad_u32_u24 v1, v2, s25, v1
	v_mbcnt_lo_u32_b32 v4, -1, 0
	v_mad_u64_u32 v[1:2], s[36:37], v1, s22, v[0:1]
	v_mbcnt_hi_u32_b32 v4, -1, v4
	v_and_b32_e32 v6, 63, v0
	v_cmp_eq_u32_e64 s[16:17], 63, v6
	v_subrev_co_u32_e64 v6, s[4:5], 1, v4
	v_and_b32_e32 v14, 64, v4
	v_lshrrev_b32_e32 v7, 4, v0
	v_and_b32_e32 v9, 0x3c0, v0
	v_cmp_lt_i32_e32 vcc, v6, v14
	v_lshlrev_b32_e32 v12, 4, v0
	v_mul_i32_i24_e32 v8, -12, v0
	v_and_b32_e32 v10, 15, v4
	v_and_b32_e32 v13, 16, v4
	v_cmp_lt_u32_e64 s[18:19], 31, v4
	v_and_b32_e32 v16, 60, v7
	v_add_u32_e32 v18, v4, v9
	v_cndmask_b32_e32 v4, v6, v4, vcc
	s_and_b64 s[30:31], s[30:31], s[34:35]
	v_lshrrev_b32_e32 v1, 6, v1
	v_mov_b32_e32 v5, 0
	v_cmp_gt_u32_e64 s[6:7], 16, v0
	v_cmp_lt_u32_e64 s[2:3], 63, v0
	v_cmp_eq_u32_e64 s[0:1], 0, v0
	v_add_u32_e32 v15, v12, v8
	v_cmp_eq_u32_e64 s[14:15], 0, v10
	v_cmp_lt_u32_e64 s[12:13], 1, v10
	v_cmp_lt_u32_e64 s[10:11], 3, v10
	;; [unrolled: 1-line block ×3, first 2 shown]
	v_cmp_eq_u32_e64 s[20:21], 0, v13
	v_add_u32_e32 v14, -4, v16
	v_lshlrev_b32_e32 v20, 1, v18
	v_lshlrev_b32_e32 v13, 2, v4
	v_mov_b32_e32 v23, s27
	s_and_b64 vcc, exec, s[30:31]
	v_lshlrev_b32_e32 v19, 2, v1
	s_waitcnt vmcnt(1)
	v_xor_b32_e32 v21, -1, v3
	s_cbranch_vccnz .LBB50_13
; %bb.1:
	s_mov_b32 s22, s23
	s_mov_b32 s30, s23
	;; [unrolled: 1-line block ×3, first 2 shown]
	v_mov_b32_e32 v7, s22
	v_mov_b32_e32 v9, s30
	s_sub_i32 s25, s29, s28
	v_mov_b32_e32 v8, s23
	v_mov_b32_e32 v10, s31
	s_waitcnt vmcnt(0)
	v_mov_b32_e32 v4, v17
	v_mov_b32_e32 v3, v21
	s_branch .LBB50_3
.LBB50_2:                               ;   in Loop: Header=BB50_3 Depth=1
	s_andn2_b64 vcc, exec, s[22:23]
	s_cbranch_vccz .LBB50_14
.LBB50_3:                               ; =>This Inner Loop Header: Depth=1
	v_mov_b32_e32 v25, v3
	s_min_u32 s22, s25, 8
	v_lshrrev_b32_sdwa v1, s28, v25 dst_sel:DWORD dst_unused:UNUSED_PAD src0_sel:DWORD src1_sel:WORD_0
	v_bfe_u32 v1, v1, 0, s22
	v_and_b32_e32 v2, 1, v1
	v_mov_b32_e32 v24, v4
	v_add_co_u32_e32 v4, vcc, -1, v2
	v_addc_co_u32_e64 v6, s[22:23], 0, -1, vcc
	v_cmp_ne_u32_e32 vcc, 0, v2
	v_xor_b32_e32 v2, vcc_hi, v6
	v_lshlrev_b32_e32 v6, 30, v1
	v_xor_b32_e32 v4, vcc_lo, v4
	v_cmp_gt_i64_e32 vcc, 0, v[5:6]
	v_not_b32_e32 v6, v6
	v_ashrrev_i32_e32 v6, 31, v6
	v_and_b32_e32 v4, exec_lo, v4
	v_xor_b32_e32 v26, vcc_hi, v6
	v_xor_b32_e32 v6, vcc_lo, v6
	v_and_b32_e32 v4, v4, v6
	v_lshlrev_b32_e32 v6, 29, v1
	v_cmp_gt_i64_e32 vcc, 0, v[5:6]
	v_not_b32_e32 v6, v6
	v_and_b32_e32 v2, exec_hi, v2
	v_ashrrev_i32_e32 v6, 31, v6
	v_and_b32_e32 v2, v2, v26
	v_xor_b32_e32 v26, vcc_hi, v6
	v_xor_b32_e32 v6, vcc_lo, v6
	v_and_b32_e32 v4, v4, v6
	v_lshlrev_b32_e32 v6, 28, v1
	v_cmp_gt_i64_e32 vcc, 0, v[5:6]
	v_not_b32_e32 v6, v6
	v_ashrrev_i32_e32 v6, 31, v6
	v_and_b32_e32 v2, v2, v26
	v_xor_b32_e32 v26, vcc_hi, v6
	v_xor_b32_e32 v6, vcc_lo, v6
	v_and_b32_e32 v4, v4, v6
	v_lshlrev_b32_e32 v6, 27, v1
	v_cmp_gt_i64_e32 vcc, 0, v[5:6]
	v_not_b32_e32 v6, v6
	;; [unrolled: 8-line block ×4, first 2 shown]
	v_ashrrev_i32_e32 v6, 31, v6
	v_and_b32_e32 v2, v2, v26
	v_xor_b32_e32 v26, vcc_hi, v6
	v_xor_b32_e32 v6, vcc_lo, v6
	v_and_b32_e32 v4, v4, v6
	v_lshlrev_b32_e32 v6, 24, v1
	v_lshlrev_b32_e32 v3, 6, v1
	v_cmp_gt_i64_e32 vcc, 0, v[5:6]
	v_not_b32_e32 v1, v6
	v_ashrrev_i32_e32 v1, 31, v1
	v_xor_b32_e32 v6, vcc_hi, v1
	v_xor_b32_e32 v1, vcc_lo, v1
	v_and_b32_e32 v2, v2, v26
	v_and_b32_e32 v1, v4, v1
	;; [unrolled: 1-line block ×3, first 2 shown]
	v_mbcnt_lo_u32_b32 v4, v1, 0
	v_mbcnt_hi_u32_b32 v6, v2, v4
	v_cmp_ne_u64_e32 vcc, 0, v[1:2]
	v_cmp_eq_u32_e64 s[22:23], 0, v6
	s_and_b64 s[30:31], vcc, s[22:23]
	v_add_u32_e32 v26, v19, v3
	ds_write2_b64 v12, v[7:8], v[9:10] offset0:8 offset1:9
	s_waitcnt lgkmcnt(0)
	s_barrier
	; wave barrier
	s_and_saveexec_b64 s[22:23], s[30:31]
; %bb.4:                                ;   in Loop: Header=BB50_3 Depth=1
	v_bcnt_u32_b32 v1, v1, 0
	v_bcnt_u32_b32 v1, v2, v1
	ds_write_b32 v26, v1 offset:64
; %bb.5:                                ;   in Loop: Header=BB50_3 Depth=1
	s_or_b64 exec, exec, s[22:23]
	; wave barrier
	s_waitcnt lgkmcnt(0)
	s_barrier
	ds_read2_b64 v[1:4], v12 offset0:8 offset1:9
	s_waitcnt lgkmcnt(0)
	v_add_u32_e32 v27, v2, v1
	v_add3_u32 v4, v27, v3, v4
	s_nop 1
	v_mov_b32_dpp v27, v4 row_shr:1 row_mask:0xf bank_mask:0xf
	v_cndmask_b32_e64 v27, v27, 0, s[14:15]
	v_add_u32_e32 v4, v27, v4
	s_nop 1
	v_mov_b32_dpp v27, v4 row_shr:2 row_mask:0xf bank_mask:0xf
	v_cndmask_b32_e64 v27, 0, v27, s[12:13]
	v_add_u32_e32 v4, v4, v27
	;; [unrolled: 4-line block ×4, first 2 shown]
	s_nop 1
	v_mov_b32_dpp v27, v4 row_bcast:15 row_mask:0xf bank_mask:0xf
	v_cndmask_b32_e64 v27, v27, 0, s[20:21]
	v_add_u32_e32 v4, v4, v27
	s_nop 1
	v_mov_b32_dpp v27, v4 row_bcast:31 row_mask:0xf bank_mask:0xf
	v_cndmask_b32_e64 v27, 0, v27, s[18:19]
	v_add_u32_e32 v4, v4, v27
	s_and_saveexec_b64 s[22:23], s[16:17]
; %bb.6:                                ;   in Loop: Header=BB50_3 Depth=1
	ds_write_b32 v16, v4
; %bb.7:                                ;   in Loop: Header=BB50_3 Depth=1
	s_or_b64 exec, exec, s[22:23]
	s_waitcnt lgkmcnt(0)
	s_barrier
	s_and_saveexec_b64 s[22:23], s[6:7]
	s_cbranch_execz .LBB50_9
; %bb.8:                                ;   in Loop: Header=BB50_3 Depth=1
	ds_read_b32 v27, v15
	s_waitcnt lgkmcnt(0)
	s_nop 0
	v_mov_b32_dpp v28, v27 row_shr:1 row_mask:0xf bank_mask:0xf
	v_cndmask_b32_e64 v28, v28, 0, s[14:15]
	v_add_u32_e32 v27, v28, v27
	s_nop 1
	v_mov_b32_dpp v28, v27 row_shr:2 row_mask:0xf bank_mask:0xf
	v_cndmask_b32_e64 v28, 0, v28, s[12:13]
	v_add_u32_e32 v27, v27, v28
	;; [unrolled: 4-line block ×4, first 2 shown]
	ds_write_b32 v15, v27
.LBB50_9:                               ;   in Loop: Header=BB50_3 Depth=1
	s_or_b64 exec, exec, s[22:23]
	v_mov_b32_e32 v27, 0
	s_waitcnt lgkmcnt(0)
	s_barrier
	s_and_saveexec_b64 s[22:23], s[2:3]
; %bb.10:                               ;   in Loop: Header=BB50_3 Depth=1
	ds_read_b32 v27, v14
; %bb.11:                               ;   in Loop: Header=BB50_3 Depth=1
	s_or_b64 exec, exec, s[22:23]
	s_waitcnt lgkmcnt(0)
	v_add_u32_e32 v4, v27, v4
	ds_bpermute_b32 v4, v13, v4
	s_add_i32 s28, s28, 8
	s_cmp_ge_u32 s28, s29
	s_mov_b64 s[22:23], -1
	s_waitcnt lgkmcnt(0)
	v_cndmask_b32_e64 v4, v4, v27, s[4:5]
	v_cndmask_b32_e64 v27, v4, 0, s[0:1]
	v_add_u32_e32 v28, v27, v1
	v_add_u32_e32 v1, v28, v2
	;; [unrolled: 1-line block ×3, first 2 shown]
	ds_write2_b64 v12, v[27:28], v[1:2] offset0:8 offset1:9
	s_waitcnt lgkmcnt(0)
	s_barrier
	ds_read_b32 v1, v26 offset:64
	s_waitcnt lgkmcnt(0)
                                        ; implicit-def: $vgpr3
                                        ; implicit-def: $vgpr4
	v_add_u32_e32 v1, v1, v6
	v_lshlrev_b32_e32 v2, 1, v1
	s_cbranch_scc1 .LBB50_2
; %bb.12:                               ;   in Loop: Header=BB50_3 Depth=1
	s_barrier
	ds_write_b16 v2, v25
	s_waitcnt lgkmcnt(0)
	s_barrier
	ds_read_u16 v3, v20
	s_waitcnt lgkmcnt(0)
	s_barrier
	ds_write_b8 v1, v24
	s_waitcnt lgkmcnt(0)
	s_barrier
	ds_read_u8 v4, v18
	s_add_i32 s25, s25, -8
	s_mov_b64 s[22:23], 0
	s_waitcnt lgkmcnt(0)
	s_barrier
	s_branch .LBB50_2
.LBB50_13:
	s_mov_b64 s[22:23], -1
                                        ; implicit-def: $vgpr2
	s_branch .LBB50_15
.LBB50_14:
	s_barrier
	ds_write_b16 v2, v25
	s_waitcnt lgkmcnt(0)
	s_barrier
	ds_read_u16 v2, v11
	s_mov_b64 s[22:23], 0
	s_waitcnt lgkmcnt(0)
	s_barrier
	ds_write_b8 v1, v24
	s_waitcnt lgkmcnt(0)
	s_barrier
.LBB50_15:
	v_add_co_u32_e32 v5, vcc, s24, v11
	v_addc_co_u32_e32 v6, vcc, 0, v22, vcc
	v_add_co_u32_e32 v7, vcc, s26, v0
	v_addc_co_u32_e32 v8, vcc, 0, v23, vcc
	s_and_b64 vcc, exec, s[22:23]
	s_cbranch_vccz .LBB50_33
; %bb.16:
	s_mov_b32 s22, 0
	s_mov_b32 s24, s22
	;; [unrolled: 1-line block ×4, first 2 shown]
	v_mov_b32_e32 v1, s22
	v_mov_b32_e32 v3, s24
	;; [unrolled: 1-line block ×4, first 2 shown]
	ds_write2_b64 v12, v[1:2], v[3:4] offset0:8 offset1:9
	v_and_b32_e32 v2, 1, v21
	v_add_co_u32_e32 v3, vcc, -1, v2
	v_mov_b32_e32 v1, 4
	v_addc_co_u32_e64 v4, s[22:23], 0, -1, vcc
	v_cmp_ne_u32_e32 vcc, 0, v2
	v_lshlrev_b16_sdwa v1, v1, v21 dst_sel:DWORD dst_unused:UNUSED_PAD src0_sel:DWORD src1_sel:BYTE_0
	v_xor_b32_e32 v2, vcc_hi, v4
	v_lshl_add_u32 v10, v1, 2, v19
	v_mov_b32_e32 v1, 0
	v_and_b32_e32 v4, exec_hi, v2
	v_lshlrev_b32_e32 v2, 30, v21
	v_xor_b32_e32 v3, vcc_lo, v3
	v_cmp_gt_i64_e32 vcc, 0, v[1:2]
	v_not_b32_e32 v2, v2
	v_ashrrev_i32_e32 v2, 31, v2
	v_and_b32_e32 v3, exec_lo, v3
	v_xor_b32_e32 v9, vcc_hi, v2
	v_xor_b32_e32 v2, vcc_lo, v2
	v_and_b32_e32 v3, v3, v2
	v_lshlrev_b32_e32 v2, 29, v21
	v_cmp_gt_i64_e32 vcc, 0, v[1:2]
	v_not_b32_e32 v2, v2
	v_ashrrev_i32_e32 v2, 31, v2
	v_and_b32_e32 v4, v4, v9
	v_xor_b32_e32 v9, vcc_hi, v2
	v_xor_b32_e32 v2, vcc_lo, v2
	v_and_b32_e32 v3, v3, v2
	v_lshlrev_b32_e32 v2, 28, v21
	v_cmp_gt_i64_e32 vcc, 0, v[1:2]
	v_not_b32_e32 v2, v2
	v_ashrrev_i32_e32 v2, 31, v2
	v_and_b32_e32 v4, v4, v9
	;; [unrolled: 8-line block ×5, first 2 shown]
	v_xor_b32_e32 v9, vcc_hi, v2
	v_xor_b32_e32 v2, vcc_lo, v2
	v_and_b32_e32 v3, v3, v2
	v_lshlrev_b32_e32 v2, 24, v21
	v_cmp_gt_i64_e32 vcc, 0, v[1:2]
	v_not_b32_e32 v1, v2
	v_ashrrev_i32_e32 v1, 31, v1
	v_xor_b32_e32 v2, vcc_hi, v1
	v_xor_b32_e32 v1, vcc_lo, v1
	v_and_b32_e32 v4, v4, v9
	v_and_b32_e32 v1, v3, v1
	;; [unrolled: 1-line block ×3, first 2 shown]
	v_mbcnt_lo_u32_b32 v3, v1, 0
	v_mbcnt_hi_u32_b32 v22, v2, v3
	v_cmp_ne_u64_e32 vcc, 0, v[1:2]
	v_cmp_eq_u32_e64 s[22:23], 0, v22
	s_and_b64 s[24:25], vcc, s[22:23]
	s_waitcnt vmcnt(0) lgkmcnt(0)
	s_barrier
	; wave barrier
	s_and_saveexec_b64 s[22:23], s[24:25]
; %bb.17:
	v_bcnt_u32_b32 v1, v1, 0
	v_bcnt_u32_b32 v1, v2, v1
	ds_write_b32 v10, v1 offset:64
; %bb.18:
	s_or_b64 exec, exec, s[22:23]
	; wave barrier
	s_waitcnt lgkmcnt(0)
	s_barrier
	ds_read2_b64 v[1:4], v12 offset0:8 offset1:9
	s_waitcnt lgkmcnt(0)
	v_add_u32_e32 v9, v2, v1
	v_add3_u32 v4, v9, v3, v4
	s_nop 1
	v_mov_b32_dpp v9, v4 row_shr:1 row_mask:0xf bank_mask:0xf
	v_cndmask_b32_e64 v9, v9, 0, s[14:15]
	v_add_u32_e32 v4, v9, v4
	s_nop 1
	v_mov_b32_dpp v9, v4 row_shr:2 row_mask:0xf bank_mask:0xf
	v_cndmask_b32_e64 v9, 0, v9, s[12:13]
	v_add_u32_e32 v4, v4, v9
	;; [unrolled: 4-line block ×4, first 2 shown]
	s_nop 1
	v_mov_b32_dpp v9, v4 row_bcast:15 row_mask:0xf bank_mask:0xf
	v_cndmask_b32_e64 v9, v9, 0, s[20:21]
	v_add_u32_e32 v4, v4, v9
	s_nop 1
	v_mov_b32_dpp v9, v4 row_bcast:31 row_mask:0xf bank_mask:0xf
	v_cndmask_b32_e64 v9, 0, v9, s[18:19]
	v_add_u32_e32 v4, v4, v9
	s_and_saveexec_b64 s[22:23], s[16:17]
; %bb.19:
	ds_write_b32 v16, v4
; %bb.20:
	s_or_b64 exec, exec, s[22:23]
	s_waitcnt lgkmcnt(0)
	s_barrier
	s_and_saveexec_b64 s[22:23], s[6:7]
	s_cbranch_execz .LBB50_22
; %bb.21:
	ds_read_b32 v9, v15
	s_waitcnt lgkmcnt(0)
	s_nop 0
	v_mov_b32_dpp v23, v9 row_shr:1 row_mask:0xf bank_mask:0xf
	v_cndmask_b32_e64 v23, v23, 0, s[14:15]
	v_add_u32_e32 v9, v23, v9
	s_nop 1
	v_mov_b32_dpp v23, v9 row_shr:2 row_mask:0xf bank_mask:0xf
	v_cndmask_b32_e64 v23, 0, v23, s[12:13]
	v_add_u32_e32 v9, v9, v23
	;; [unrolled: 4-line block ×4, first 2 shown]
	ds_write_b32 v15, v9
.LBB50_22:
	s_or_b64 exec, exec, s[22:23]
	v_mov_b32_e32 v9, 0
	v_mov_b32_e32 v23, 0
	s_waitcnt lgkmcnt(0)
	s_barrier
	s_and_saveexec_b64 s[22:23], s[2:3]
; %bb.23:
	ds_read_b32 v23, v14
; %bb.24:
	s_or_b64 exec, exec, s[22:23]
	s_waitcnt lgkmcnt(0)
	v_add_u32_e32 v4, v23, v4
	ds_bpermute_b32 v4, v13, v4
	s_mov_b32 s22, 0
	s_mov_b32 s24, s22
	;; [unrolled: 1-line block ×4, first 2 shown]
	s_waitcnt lgkmcnt(0)
	v_cndmask_b32_e64 v4, v4, v23, s[4:5]
	v_cndmask_b32_e64 v23, v4, 0, s[0:1]
	v_add_u32_e32 v24, v23, v1
	v_add_u32_e32 v1, v24, v2
	;; [unrolled: 1-line block ×3, first 2 shown]
	ds_write2_b64 v12, v[23:24], v[1:2] offset0:8 offset1:9
	s_waitcnt lgkmcnt(0)
	s_barrier
	ds_read_b32 v1, v10 offset:64
	s_waitcnt lgkmcnt(0)
	s_barrier
	v_mov_b32_e32 v3, s24
	v_add_u32_e32 v1, v1, v22
	v_lshlrev_b32_e32 v2, 1, v1
	ds_write_b16 v2, v21
	s_waitcnt lgkmcnt(0)
	s_barrier
	ds_read_u16 v20, v20
	s_waitcnt lgkmcnt(0)
	s_barrier
	ds_write_b8 v1, v17
	v_mov_b32_e32 v1, s22
	v_mov_b32_e32 v2, s23
	;; [unrolled: 1-line block ×3, first 2 shown]
	s_waitcnt lgkmcnt(0)
	s_barrier
	ds_read_u8 v17, v18
	s_waitcnt lgkmcnt(0)
	s_barrier
	ds_write2_b64 v12, v[1:2], v[3:4] offset0:8 offset1:9
	v_mov_b32_e32 v1, 4
	v_lshlrev_b16_sdwa v1, v1, v20 dst_sel:DWORD dst_unused:UNUSED_PAD src0_sel:DWORD src1_sel:BYTE_1
	v_lshl_add_u32 v18, v1, 2, v19
	v_mov_b32_e32 v1, 1
	v_and_b32_sdwa v1, v20, v1 dst_sel:DWORD dst_unused:UNUSED_PAD src0_sel:BYTE_1 src1_sel:DWORD
	v_add_co_u32_e32 v2, vcc, -1, v1
	v_addc_co_u32_e64 v3, s[22:23], 0, -1, vcc
	v_cmp_ne_u32_e32 vcc, 0, v1
	v_xor_b32_e32 v1, vcc_hi, v3
	v_mov_b32_e32 v3, 30
	v_lshlrev_b32_sdwa v10, v3, v20 dst_sel:DWORD dst_unused:UNUSED_PAD src0_sel:DWORD src1_sel:BYTE_1
	v_xor_b32_e32 v2, vcc_lo, v2
	v_cmp_gt_i64_e32 vcc, 0, v[9:10]
	v_not_b32_e32 v3, v10
	v_ashrrev_i32_e32 v3, 31, v3
	v_and_b32_e32 v2, exec_lo, v2
	v_xor_b32_e32 v4, vcc_hi, v3
	v_xor_b32_e32 v3, vcc_lo, v3
	v_and_b32_e32 v2, v2, v3
	v_mov_b32_e32 v3, 29
	v_lshlrev_b32_sdwa v10, v3, v20 dst_sel:DWORD dst_unused:UNUSED_PAD src0_sel:DWORD src1_sel:BYTE_1
	v_cmp_gt_i64_e32 vcc, 0, v[9:10]
	v_not_b32_e32 v3, v10
	v_and_b32_e32 v1, exec_hi, v1
	v_ashrrev_i32_e32 v3, 31, v3
	v_and_b32_e32 v1, v1, v4
	v_xor_b32_e32 v4, vcc_hi, v3
	v_xor_b32_e32 v3, vcc_lo, v3
	v_and_b32_e32 v2, v2, v3
	v_mov_b32_e32 v3, 28
	v_lshlrev_b32_sdwa v10, v3, v20 dst_sel:DWORD dst_unused:UNUSED_PAD src0_sel:DWORD src1_sel:BYTE_1
	v_cmp_gt_i64_e32 vcc, 0, v[9:10]
	v_not_b32_e32 v3, v10
	v_ashrrev_i32_e32 v3, 31, v3
	v_and_b32_e32 v1, v1, v4
	v_xor_b32_e32 v4, vcc_hi, v3
	v_xor_b32_e32 v3, vcc_lo, v3
	v_and_b32_e32 v2, v2, v3
	v_mov_b32_e32 v3, 27
	v_lshlrev_b32_sdwa v10, v3, v20 dst_sel:DWORD dst_unused:UNUSED_PAD src0_sel:DWORD src1_sel:BYTE_1
	v_cmp_gt_i64_e32 vcc, 0, v[9:10]
	v_not_b32_e32 v3, v10
	;; [unrolled: 9-line block ×5, first 2 shown]
	v_ashrrev_i32_e32 v2, 31, v2
	v_and_b32_e32 v1, v1, v4
	v_xor_b32_e32 v4, vcc_hi, v2
	v_xor_b32_e32 v9, vcc_lo, v2
	v_and_b32_e32 v2, v1, v4
	v_and_b32_e32 v1, v3, v9
	v_mbcnt_lo_u32_b32 v3, v1, 0
	v_mbcnt_hi_u32_b32 v9, v2, v3
	v_cmp_ne_u64_e32 vcc, 0, v[1:2]
	v_cmp_eq_u32_e64 s[22:23], 0, v9
	s_and_b64 s[24:25], vcc, s[22:23]
	s_waitcnt lgkmcnt(0)
	s_barrier
	; wave barrier
	s_and_saveexec_b64 s[22:23], s[24:25]
; %bb.25:
	v_bcnt_u32_b32 v1, v1, 0
	v_bcnt_u32_b32 v1, v2, v1
	ds_write_b32 v18, v1 offset:64
; %bb.26:
	s_or_b64 exec, exec, s[22:23]
	; wave barrier
	s_waitcnt lgkmcnt(0)
	s_barrier
	ds_read2_b64 v[1:4], v12 offset0:8 offset1:9
	s_waitcnt lgkmcnt(0)
	v_add_u32_e32 v10, v2, v1
	v_add3_u32 v4, v10, v3, v4
	s_nop 1
	v_mov_b32_dpp v10, v4 row_shr:1 row_mask:0xf bank_mask:0xf
	v_cndmask_b32_e64 v10, v10, 0, s[14:15]
	v_add_u32_e32 v4, v10, v4
	s_nop 1
	v_mov_b32_dpp v10, v4 row_shr:2 row_mask:0xf bank_mask:0xf
	v_cndmask_b32_e64 v10, 0, v10, s[12:13]
	v_add_u32_e32 v4, v4, v10
	;; [unrolled: 4-line block ×4, first 2 shown]
	s_nop 1
	v_mov_b32_dpp v10, v4 row_bcast:15 row_mask:0xf bank_mask:0xf
	v_cndmask_b32_e64 v10, v10, 0, s[20:21]
	v_add_u32_e32 v4, v4, v10
	s_nop 1
	v_mov_b32_dpp v10, v4 row_bcast:31 row_mask:0xf bank_mask:0xf
	v_cndmask_b32_e64 v10, 0, v10, s[18:19]
	v_add_u32_e32 v4, v4, v10
	s_and_saveexec_b64 s[18:19], s[16:17]
; %bb.27:
	ds_write_b32 v16, v4
; %bb.28:
	s_or_b64 exec, exec, s[18:19]
	s_waitcnt lgkmcnt(0)
	s_barrier
	s_and_saveexec_b64 s[16:17], s[6:7]
	s_cbranch_execz .LBB50_30
; %bb.29:
	ds_read_b32 v10, v15
	s_waitcnt lgkmcnt(0)
	s_nop 0
	v_mov_b32_dpp v16, v10 row_shr:1 row_mask:0xf bank_mask:0xf
	v_cndmask_b32_e64 v16, v16, 0, s[14:15]
	v_add_u32_e32 v10, v16, v10
	s_nop 1
	v_mov_b32_dpp v16, v10 row_shr:2 row_mask:0xf bank_mask:0xf
	v_cndmask_b32_e64 v16, 0, v16, s[12:13]
	v_add_u32_e32 v10, v10, v16
	;; [unrolled: 4-line block ×4, first 2 shown]
	ds_write_b32 v15, v10
.LBB50_30:
	s_or_b64 exec, exec, s[16:17]
	v_mov_b32_e32 v10, 0
	s_waitcnt lgkmcnt(0)
	s_barrier
	s_and_saveexec_b64 s[6:7], s[2:3]
; %bb.31:
	ds_read_b32 v10, v14
; %bb.32:
	s_or_b64 exec, exec, s[6:7]
	s_waitcnt lgkmcnt(0)
	v_add_u32_e32 v4, v10, v4
	ds_bpermute_b32 v4, v13, v4
	s_waitcnt lgkmcnt(0)
	v_cndmask_b32_e64 v4, v4, v10, s[4:5]
	v_cndmask_b32_e64 v13, v4, 0, s[0:1]
	v_add_u32_e32 v14, v13, v1
	v_add_u32_e32 v1, v14, v2
	;; [unrolled: 1-line block ×3, first 2 shown]
	ds_write2_b64 v12, v[13:14], v[1:2] offset0:8 offset1:9
	s_waitcnt lgkmcnt(0)
	s_barrier
	ds_read_b32 v1, v18 offset:64
	s_waitcnt lgkmcnt(0)
	s_barrier
	v_add_u32_e32 v1, v1, v9
	v_lshlrev_b32_e32 v2, 1, v1
	ds_write_b16 v2, v20
	s_waitcnt lgkmcnt(0)
	s_barrier
	ds_read_u16 v2, v11
	s_waitcnt lgkmcnt(0)
	s_barrier
	ds_write_b8 v1, v17
	s_waitcnt lgkmcnt(0)
	s_barrier
.LBB50_33:
	ds_read_u8 v0, v0
	v_xor_b32_e32 v1, -1, v2
	global_store_short v[5:6], v1, off
	s_waitcnt lgkmcnt(0)
	global_store_byte v[7:8], v0, off
	s_endpgm
	.section	.rodata,"a",@progbits
	.p2align	6, 0x0
	.amdhsa_kernel _Z21sort_key_value_kernelILj1024ELj1ELb0ELb1EtcEvPT3_PT4_jj
		.amdhsa_group_segment_fixed_size 16448
		.amdhsa_private_segment_fixed_size 0
		.amdhsa_kernarg_size 280
		.amdhsa_user_sgpr_count 6
		.amdhsa_user_sgpr_private_segment_buffer 1
		.amdhsa_user_sgpr_dispatch_ptr 0
		.amdhsa_user_sgpr_queue_ptr 0
		.amdhsa_user_sgpr_kernarg_segment_ptr 1
		.amdhsa_user_sgpr_dispatch_id 0
		.amdhsa_user_sgpr_flat_scratch_init 0
		.amdhsa_user_sgpr_private_segment_size 0
		.amdhsa_uses_dynamic_stack 0
		.amdhsa_system_sgpr_private_segment_wavefront_offset 0
		.amdhsa_system_sgpr_workgroup_id_x 1
		.amdhsa_system_sgpr_workgroup_id_y 0
		.amdhsa_system_sgpr_workgroup_id_z 0
		.amdhsa_system_sgpr_workgroup_info 0
		.amdhsa_system_vgpr_workitem_id 2
		.amdhsa_next_free_vgpr 29
		.amdhsa_next_free_sgpr 61
		.amdhsa_reserve_vcc 1
		.amdhsa_reserve_flat_scratch 0
		.amdhsa_float_round_mode_32 0
		.amdhsa_float_round_mode_16_64 0
		.amdhsa_float_denorm_mode_32 3
		.amdhsa_float_denorm_mode_16_64 3
		.amdhsa_dx10_clamp 1
		.amdhsa_ieee_mode 1
		.amdhsa_fp16_overflow 0
		.amdhsa_exception_fp_ieee_invalid_op 0
		.amdhsa_exception_fp_denorm_src 0
		.amdhsa_exception_fp_ieee_div_zero 0
		.amdhsa_exception_fp_ieee_overflow 0
		.amdhsa_exception_fp_ieee_underflow 0
		.amdhsa_exception_fp_ieee_inexact 0
		.amdhsa_exception_int_div_zero 0
	.end_amdhsa_kernel
	.section	.text._Z21sort_key_value_kernelILj1024ELj1ELb0ELb1EtcEvPT3_PT4_jj,"axG",@progbits,_Z21sort_key_value_kernelILj1024ELj1ELb0ELb1EtcEvPT3_PT4_jj,comdat
.Lfunc_end50:
	.size	_Z21sort_key_value_kernelILj1024ELj1ELb0ELb1EtcEvPT3_PT4_jj, .Lfunc_end50-_Z21sort_key_value_kernelILj1024ELj1ELb0ELb1EtcEvPT3_PT4_jj
                                        ; -- End function
	.set _Z21sort_key_value_kernelILj1024ELj1ELb0ELb1EtcEvPT3_PT4_jj.num_vgpr, 29
	.set _Z21sort_key_value_kernelILj1024ELj1ELb0ELb1EtcEvPT3_PT4_jj.num_agpr, 0
	.set _Z21sort_key_value_kernelILj1024ELj1ELb0ELb1EtcEvPT3_PT4_jj.numbered_sgpr, 38
	.set _Z21sort_key_value_kernelILj1024ELj1ELb0ELb1EtcEvPT3_PT4_jj.num_named_barrier, 0
	.set _Z21sort_key_value_kernelILj1024ELj1ELb0ELb1EtcEvPT3_PT4_jj.private_seg_size, 0
	.set _Z21sort_key_value_kernelILj1024ELj1ELb0ELb1EtcEvPT3_PT4_jj.uses_vcc, 1
	.set _Z21sort_key_value_kernelILj1024ELj1ELb0ELb1EtcEvPT3_PT4_jj.uses_flat_scratch, 0
	.set _Z21sort_key_value_kernelILj1024ELj1ELb0ELb1EtcEvPT3_PT4_jj.has_dyn_sized_stack, 0
	.set _Z21sort_key_value_kernelILj1024ELj1ELb0ELb1EtcEvPT3_PT4_jj.has_recursion, 0
	.set _Z21sort_key_value_kernelILj1024ELj1ELb0ELb1EtcEvPT3_PT4_jj.has_indirect_call, 0
	.section	.AMDGPU.csdata,"",@progbits
; Kernel info:
; codeLenInByte = 3284
; TotalNumSgprs: 42
; NumVgprs: 29
; ScratchSize: 0
; MemoryBound: 0
; FloatMode: 240
; IeeeMode: 1
; LDSByteSize: 16448 bytes/workgroup (compile time only)
; SGPRBlocks: 8
; VGPRBlocks: 7
; NumSGPRsForWavesPerEU: 65
; NumVGPRsForWavesPerEU: 29
; Occupancy: 8
; WaveLimiterHint : 0
; COMPUTE_PGM_RSRC2:SCRATCH_EN: 0
; COMPUTE_PGM_RSRC2:USER_SGPR: 6
; COMPUTE_PGM_RSRC2:TRAP_HANDLER: 0
; COMPUTE_PGM_RSRC2:TGID_X_EN: 1
; COMPUTE_PGM_RSRC2:TGID_Y_EN: 0
; COMPUTE_PGM_RSRC2:TGID_Z_EN: 0
; COMPUTE_PGM_RSRC2:TIDIG_COMP_CNT: 2
	.section	.text._Z21sort_key_value_kernelILj256ELj1ELb0ELb0EjiEvPT3_PT4_jj,"axG",@progbits,_Z21sort_key_value_kernelILj256ELj1ELb0ELb0EjiEvPT3_PT4_jj,comdat
	.protected	_Z21sort_key_value_kernelILj256ELj1ELb0ELb0EjiEvPT3_PT4_jj ; -- Begin function _Z21sort_key_value_kernelILj256ELj1ELb0ELb0EjiEvPT3_PT4_jj
	.globl	_Z21sort_key_value_kernelILj256ELj1ELb0ELb0EjiEvPT3_PT4_jj
	.p2align	8
	.type	_Z21sort_key_value_kernelILj256ELj1ELb0ELb0EjiEvPT3_PT4_jj,@function
_Z21sort_key_value_kernelILj256ELj1ELb0ELb0EjiEvPT3_PT4_jj: ; @_Z21sort_key_value_kernelILj256ELj1ELb0ELb0EjiEvPT3_PT4_jj
; %bb.0:
	s_load_dwordx4 s[0:3], s[4:5], 0x0
	s_load_dwordx2 s[34:35], s[4:5], 0x10
	s_lshl_b32 s26, s6, 8
	s_mov_b32 s27, 0
	s_lshl_b64 s[6:7], s[26:27], 2
	s_waitcnt lgkmcnt(0)
	s_add_u32 s28, s0, s6
	s_addc_u32 s29, s1, s7
	v_lshlrev_b32_e32 v19, 2, v0
	s_add_u32 s30, s2, s6
	s_addc_u32 s31, s3, s7
	global_load_dword v18, v19, s[28:29]
	global_load_dword v17, v19, s[30:31]
	s_load_dword s4, s[4:5], 0x24
	s_cmp_eq_u32 s34, 0
	s_cselect_b64 s[0:1], -1, 0
	s_cmp_eq_u32 s35, 32
	s_cselect_b64 s[2:3], -1, 0
	s_and_b64 s[36:37], s[0:1], s[2:3]
	s_waitcnt lgkmcnt(0)
	s_lshr_b32 s0, s4, 16
	s_and_b32 s1, s4, 0xffff
	v_mad_u32_u24 v1, v2, s0, v1
	v_mad_u64_u32 v[1:2], s[0:1], v1, s1, v[0:1]
	v_mbcnt_lo_u32_b32 v2, -1, 0
	v_mbcnt_hi_u32_b32 v2, -1, v2
	v_and_b32_e32 v3, 15, v2
	v_cmp_eq_u32_e64 s[24:25], 0, v3
	v_cmp_lt_u32_e64 s[22:23], 1, v3
	v_cmp_lt_u32_e64 s[20:21], 3, v3
	;; [unrolled: 1-line block ×3, first 2 shown]
	v_and_b32_e32 v3, 16, v2
	v_cmp_eq_u32_e64 s[16:17], 0, v3
	v_and_b32_e32 v3, 0xc0, v0
	v_or_b32_e32 v5, 63, v3
	v_cmp_eq_u32_e64 s[14:15], v0, v5
	v_subrev_co_u32_e64 v5, s[0:1], 1, v2
	v_and_b32_e32 v6, 64, v2
	v_cmp_lt_i32_e32 vcc, v5, v6
	v_cndmask_b32_e32 v5, v5, v2, vcc
	v_lshlrev_b32_e32 v12, 2, v5
	v_lshrrev_b32_e32 v5, 4, v0
	v_lshlrev_b32_e32 v10, 4, v0
	v_cmp_gt_u32_e64 s[6:7], 4, v0
	v_cmp_lt_u32_e64 s[4:5], 63, v0
	v_cmp_eq_u32_e64 s[2:3], 0, v0
	v_and_b32_e32 v14, 12, v5
	v_mul_i32_i24_e32 v0, -12, v0
	v_and_b32_e32 v5, 3, v2
	v_lshlrev_b32_e32 v3, 2, v3
	v_lshrrev_b32_e32 v1, 4, v1
	v_mov_b32_e32 v4, 0
	v_mov_b32_e32 v21, s29
	;; [unrolled: 1-line block ×3, first 2 shown]
	v_cmp_lt_u32_e64 s[12:13], 31, v2
	v_cmp_eq_u32_e64 s[10:11], 0, v5
	v_cmp_lt_u32_e64 s[8:9], 1, v5
	v_add_u32_e32 v13, -4, v14
	v_lshl_add_u32 v16, v2, 2, v3
	v_and_b32_e32 v15, 0xffffffc, v1
	s_and_b64 vcc, exec, s[36:37]
	v_add_u32_e32 v11, v10, v0
	s_cbranch_vccnz .LBB51_13
; %bb.1:
	s_sub_i32 s26, s35, s34
	v_mov_b32_e32 v22, s26
	s_mov_b32 s26, s27
	s_mov_b32 s36, s27
	s_mov_b32 s37, s27
	v_mov_b32_e32 v6, s26
	v_mov_b32_e32 v8, s36
	;; [unrolled: 1-line block ×4, first 2 shown]
	s_waitcnt vmcnt(0)
	v_mov_b32_e32 v2, v17
	v_mov_b32_e32 v1, v18
	s_branch .LBB51_3
.LBB51_2:                               ;   in Loop: Header=BB51_3 Depth=1
	s_andn2_b64 vcc, exec, s[26:27]
	s_cbranch_vccz .LBB51_14
.LBB51_3:                               ; =>This Inner Loop Header: Depth=1
	v_mov_b32_e32 v24, v1
	v_min_u32_e32 v0, 8, v22
	v_lshrrev_b32_e32 v1, s34, v24
	v_bfe_u32 v0, v1, 0, v0
	v_and_b32_e32 v1, 1, v0
	v_add_co_u32_e32 v3, vcc, -1, v1
	v_addc_co_u32_e64 v5, s[26:27], 0, -1, vcc
	v_cmp_ne_u32_e32 vcc, 0, v1
	v_xor_b32_e32 v1, vcc_hi, v5
	v_lshlrev_b32_e32 v5, 30, v0
	v_xor_b32_e32 v3, vcc_lo, v3
	v_cmp_gt_i64_e32 vcc, 0, v[4:5]
	v_not_b32_e32 v5, v5
	v_ashrrev_i32_e32 v5, 31, v5
	v_and_b32_e32 v3, exec_lo, v3
	v_xor_b32_e32 v25, vcc_hi, v5
	v_xor_b32_e32 v5, vcc_lo, v5
	v_and_b32_e32 v3, v3, v5
	v_lshlrev_b32_e32 v5, 29, v0
	v_cmp_gt_i64_e32 vcc, 0, v[4:5]
	v_not_b32_e32 v5, v5
	v_and_b32_e32 v1, exec_hi, v1
	v_ashrrev_i32_e32 v5, 31, v5
	v_and_b32_e32 v1, v1, v25
	v_xor_b32_e32 v25, vcc_hi, v5
	v_xor_b32_e32 v5, vcc_lo, v5
	v_and_b32_e32 v3, v3, v5
	v_lshlrev_b32_e32 v5, 28, v0
	v_cmp_gt_i64_e32 vcc, 0, v[4:5]
	v_not_b32_e32 v5, v5
	v_ashrrev_i32_e32 v5, 31, v5
	v_and_b32_e32 v1, v1, v25
	v_xor_b32_e32 v25, vcc_hi, v5
	v_xor_b32_e32 v5, vcc_lo, v5
	v_and_b32_e32 v3, v3, v5
	v_lshlrev_b32_e32 v5, 27, v0
	v_cmp_gt_i64_e32 vcc, 0, v[4:5]
	v_not_b32_e32 v5, v5
	;; [unrolled: 8-line block ×4, first 2 shown]
	v_ashrrev_i32_e32 v5, 31, v5
	v_and_b32_e32 v1, v1, v25
	v_xor_b32_e32 v25, vcc_hi, v5
	v_xor_b32_e32 v5, vcc_lo, v5
	v_and_b32_e32 v3, v3, v5
	v_lshlrev_b32_e32 v5, 24, v0
	v_mov_b32_e32 v23, v2
	v_lshlrev_b32_e32 v2, 4, v0
	v_cmp_gt_i64_e32 vcc, 0, v[4:5]
	v_not_b32_e32 v0, v5
	v_ashrrev_i32_e32 v0, 31, v0
	v_xor_b32_e32 v5, vcc_hi, v0
	v_xor_b32_e32 v0, vcc_lo, v0
	v_and_b32_e32 v1, v1, v25
	v_and_b32_e32 v0, v3, v0
	;; [unrolled: 1-line block ×3, first 2 shown]
	v_mbcnt_lo_u32_b32 v3, v0, 0
	v_mbcnt_hi_u32_b32 v5, v1, v3
	v_cmp_ne_u64_e32 vcc, 0, v[0:1]
	v_cmp_eq_u32_e64 s[26:27], 0, v5
	s_and_b64 s[36:37], vcc, s[26:27]
	v_add_u32_e32 v25, v15, v2
	ds_write2_b64 v10, v[6:7], v[8:9] offset0:2 offset1:3
	s_waitcnt lgkmcnt(0)
	s_barrier
	; wave barrier
	s_and_saveexec_b64 s[26:27], s[36:37]
; %bb.4:                                ;   in Loop: Header=BB51_3 Depth=1
	v_bcnt_u32_b32 v0, v0, 0
	v_bcnt_u32_b32 v0, v1, v0
	ds_write_b32 v25, v0 offset:16
; %bb.5:                                ;   in Loop: Header=BB51_3 Depth=1
	s_or_b64 exec, exec, s[26:27]
	; wave barrier
	s_waitcnt lgkmcnt(0)
	s_barrier
	ds_read2_b64 v[0:3], v10 offset0:2 offset1:3
	s_waitcnt lgkmcnt(0)
	v_add_u32_e32 v26, v1, v0
	v_add3_u32 v3, v26, v2, v3
	s_nop 1
	v_mov_b32_dpp v26, v3 row_shr:1 row_mask:0xf bank_mask:0xf
	v_cndmask_b32_e64 v26, v26, 0, s[24:25]
	v_add_u32_e32 v3, v26, v3
	s_nop 1
	v_mov_b32_dpp v26, v3 row_shr:2 row_mask:0xf bank_mask:0xf
	v_cndmask_b32_e64 v26, 0, v26, s[22:23]
	v_add_u32_e32 v3, v3, v26
	;; [unrolled: 4-line block ×4, first 2 shown]
	s_nop 1
	v_mov_b32_dpp v26, v3 row_bcast:15 row_mask:0xf bank_mask:0xf
	v_cndmask_b32_e64 v26, v26, 0, s[16:17]
	v_add_u32_e32 v3, v3, v26
	s_nop 1
	v_mov_b32_dpp v26, v3 row_bcast:31 row_mask:0xf bank_mask:0xf
	v_cndmask_b32_e64 v26, 0, v26, s[12:13]
	v_add_u32_e32 v3, v3, v26
	s_and_saveexec_b64 s[26:27], s[14:15]
; %bb.6:                                ;   in Loop: Header=BB51_3 Depth=1
	ds_write_b32 v14, v3
; %bb.7:                                ;   in Loop: Header=BB51_3 Depth=1
	s_or_b64 exec, exec, s[26:27]
	s_waitcnt lgkmcnt(0)
	s_barrier
	s_and_saveexec_b64 s[26:27], s[6:7]
	s_cbranch_execz .LBB51_9
; %bb.8:                                ;   in Loop: Header=BB51_3 Depth=1
	ds_read_b32 v26, v11
	s_waitcnt lgkmcnt(0)
	s_nop 0
	v_mov_b32_dpp v27, v26 row_shr:1 row_mask:0xf bank_mask:0xf
	v_cndmask_b32_e64 v27, v27, 0, s[10:11]
	v_add_u32_e32 v26, v27, v26
	s_nop 1
	v_mov_b32_dpp v27, v26 row_shr:2 row_mask:0xf bank_mask:0xf
	v_cndmask_b32_e64 v27, 0, v27, s[8:9]
	v_add_u32_e32 v26, v26, v27
	ds_write_b32 v11, v26
.LBB51_9:                               ;   in Loop: Header=BB51_3 Depth=1
	s_or_b64 exec, exec, s[26:27]
	v_mov_b32_e32 v26, 0
	s_waitcnt lgkmcnt(0)
	s_barrier
	s_and_saveexec_b64 s[26:27], s[4:5]
; %bb.10:                               ;   in Loop: Header=BB51_3 Depth=1
	ds_read_b32 v26, v13
; %bb.11:                               ;   in Loop: Header=BB51_3 Depth=1
	s_or_b64 exec, exec, s[26:27]
	s_waitcnt lgkmcnt(0)
	v_add_u32_e32 v3, v26, v3
	ds_bpermute_b32 v3, v12, v3
	s_add_i32 s34, s34, 8
	s_cmp_ge_u32 s34, s35
	s_mov_b64 s[26:27], -1
	s_waitcnt lgkmcnt(0)
	v_cndmask_b32_e64 v3, v3, v26, s[0:1]
	v_cndmask_b32_e64 v26, v3, 0, s[2:3]
	v_add_u32_e32 v27, v26, v0
	v_add_u32_e32 v0, v27, v1
	;; [unrolled: 1-line block ×3, first 2 shown]
	ds_write2_b64 v10, v[26:27], v[0:1] offset0:2 offset1:3
	s_waitcnt lgkmcnt(0)
	s_barrier
	ds_read_b32 v0, v25 offset:16
	v_lshlrev_b32_e32 v1, 2, v5
	s_waitcnt lgkmcnt(0)
                                        ; implicit-def: $vgpr2
	v_lshl_add_u32 v0, v0, 2, v1
                                        ; implicit-def: $vgpr1
	s_cbranch_scc1 .LBB51_2
; %bb.12:                               ;   in Loop: Header=BB51_3 Depth=1
	s_barrier
	ds_write_b32 v0, v24
	s_waitcnt lgkmcnt(0)
	s_barrier
	ds_read_b32 v1, v16
	s_waitcnt lgkmcnt(0)
	s_barrier
	ds_write_b32 v0, v23
	s_waitcnt lgkmcnt(0)
	s_barrier
	ds_read_b32 v2, v16
	v_add_u32_e32 v22, -8, v22
	s_mov_b64 s[26:27], 0
	s_waitcnt lgkmcnt(0)
	s_barrier
	s_branch .LBB51_2
.LBB51_13:
	s_mov_b64 s[26:27], -1
                                        ; implicit-def: $vgpr1
	s_branch .LBB51_15
.LBB51_14:
	s_barrier
	ds_write_b32 v0, v24
	s_waitcnt lgkmcnt(0)
	s_barrier
	ds_read_b32 v1, v11
	s_mov_b64 s[26:27], 0
	s_waitcnt lgkmcnt(0)
	s_barrier
	ds_write_b32 v0, v23
	s_waitcnt lgkmcnt(0)
	s_barrier
.LBB51_15:
	v_add_co_u32_e32 v4, vcc, s28, v19
	v_addc_co_u32_e32 v5, vcc, 0, v21, vcc
	v_add_co_u32_e32 v6, vcc, s30, v19
	v_addc_co_u32_e32 v7, vcc, 0, v20, vcc
	s_and_b64 vcc, exec, s[26:27]
	s_cbranch_vccz .LBB51_49
; %bb.16:
	s_mov_b32 s26, 0
	s_mov_b32 s28, s26
	;; [unrolled: 1-line block ×4, first 2 shown]
	v_mov_b32_e32 v0, s26
	v_mov_b32_e32 v2, s28
	;; [unrolled: 1-line block ×4, first 2 shown]
	ds_write2_b64 v10, v[0:1], v[2:3] offset0:2 offset1:3
	s_waitcnt vmcnt(1)
	v_and_b32_e32 v1, 1, v18
	v_add_co_u32_e32 v3, vcc, -1, v1
	v_addc_co_u32_e64 v8, s[26:27], 0, -1, vcc
	v_cmp_ne_u32_e32 vcc, 0, v1
	v_mov_b32_e32 v0, 4
	v_xor_b32_e32 v1, vcc_hi, v8
	v_lshlrev_b32_sdwa v2, v0, v18 dst_sel:DWORD dst_unused:UNUSED_PAD src0_sel:DWORD src1_sel:BYTE_0
	v_mov_b32_e32 v0, 0
	v_and_b32_e32 v8, exec_hi, v1
	v_lshlrev_b32_e32 v1, 30, v18
	v_xor_b32_e32 v3, vcc_lo, v3
	v_cmp_gt_i64_e32 vcc, 0, v[0:1]
	v_not_b32_e32 v1, v1
	v_ashrrev_i32_e32 v1, 31, v1
	v_and_b32_e32 v3, exec_lo, v3
	v_xor_b32_e32 v9, vcc_hi, v1
	v_xor_b32_e32 v1, vcc_lo, v1
	v_and_b32_e32 v3, v3, v1
	v_lshlrev_b32_e32 v1, 29, v18
	v_cmp_gt_i64_e32 vcc, 0, v[0:1]
	v_not_b32_e32 v1, v1
	v_ashrrev_i32_e32 v1, 31, v1
	v_and_b32_e32 v8, v8, v9
	v_xor_b32_e32 v9, vcc_hi, v1
	v_xor_b32_e32 v1, vcc_lo, v1
	v_and_b32_e32 v3, v3, v1
	v_lshlrev_b32_e32 v1, 28, v18
	v_cmp_gt_i64_e32 vcc, 0, v[0:1]
	v_not_b32_e32 v1, v1
	v_ashrrev_i32_e32 v1, 31, v1
	v_and_b32_e32 v8, v8, v9
	;; [unrolled: 8-line block ×5, first 2 shown]
	v_xor_b32_e32 v9, vcc_hi, v1
	v_xor_b32_e32 v1, vcc_lo, v1
	v_and_b32_e32 v3, v3, v1
	v_lshlrev_b32_e32 v1, 24, v18
	v_cmp_gt_i64_e32 vcc, 0, v[0:1]
	v_not_b32_e32 v0, v1
	v_ashrrev_i32_e32 v0, 31, v0
	v_xor_b32_e32 v1, vcc_hi, v0
	v_xor_b32_e32 v0, vcc_lo, v0
	v_and_b32_e32 v8, v8, v9
	v_and_b32_e32 v0, v3, v0
	;; [unrolled: 1-line block ×3, first 2 shown]
	v_mbcnt_lo_u32_b32 v3, v0, 0
	v_mbcnt_hi_u32_b32 v9, v1, v3
	v_cmp_ne_u64_e32 vcc, 0, v[0:1]
	v_cmp_eq_u32_e64 s[26:27], 0, v9
	s_and_b64 s[28:29], vcc, s[26:27]
	v_add_u32_e32 v19, v15, v2
	s_waitcnt vmcnt(0) lgkmcnt(0)
	s_barrier
	; wave barrier
	s_and_saveexec_b64 s[26:27], s[28:29]
; %bb.17:
	v_bcnt_u32_b32 v0, v0, 0
	v_bcnt_u32_b32 v0, v1, v0
	ds_write_b32 v19, v0 offset:16
; %bb.18:
	s_or_b64 exec, exec, s[26:27]
	; wave barrier
	s_waitcnt lgkmcnt(0)
	s_barrier
	ds_read2_b64 v[0:3], v10 offset0:2 offset1:3
	s_waitcnt lgkmcnt(0)
	v_add_u32_e32 v8, v1, v0
	v_add3_u32 v3, v8, v2, v3
	s_nop 1
	v_mov_b32_dpp v8, v3 row_shr:1 row_mask:0xf bank_mask:0xf
	v_cndmask_b32_e64 v8, v8, 0, s[24:25]
	v_add_u32_e32 v3, v8, v3
	s_nop 1
	v_mov_b32_dpp v8, v3 row_shr:2 row_mask:0xf bank_mask:0xf
	v_cndmask_b32_e64 v8, 0, v8, s[22:23]
	v_add_u32_e32 v3, v3, v8
	;; [unrolled: 4-line block ×4, first 2 shown]
	s_nop 1
	v_mov_b32_dpp v8, v3 row_bcast:15 row_mask:0xf bank_mask:0xf
	v_cndmask_b32_e64 v8, v8, 0, s[16:17]
	v_add_u32_e32 v3, v3, v8
	s_nop 1
	v_mov_b32_dpp v8, v3 row_bcast:31 row_mask:0xf bank_mask:0xf
	v_cndmask_b32_e64 v8, 0, v8, s[12:13]
	v_add_u32_e32 v3, v3, v8
	s_and_saveexec_b64 s[26:27], s[14:15]
; %bb.19:
	ds_write_b32 v14, v3
; %bb.20:
	s_or_b64 exec, exec, s[26:27]
	s_waitcnt lgkmcnt(0)
	s_barrier
	s_and_saveexec_b64 s[26:27], s[6:7]
	s_cbranch_execz .LBB51_22
; %bb.21:
	ds_read_b32 v8, v11
	s_waitcnt lgkmcnt(0)
	s_nop 0
	v_mov_b32_dpp v20, v8 row_shr:1 row_mask:0xf bank_mask:0xf
	v_cndmask_b32_e64 v20, v20, 0, s[10:11]
	v_add_u32_e32 v8, v20, v8
	s_nop 1
	v_mov_b32_dpp v20, v8 row_shr:2 row_mask:0xf bank_mask:0xf
	v_cndmask_b32_e64 v20, 0, v20, s[8:9]
	v_add_u32_e32 v8, v8, v20
	ds_write_b32 v11, v8
.LBB51_22:
	s_or_b64 exec, exec, s[26:27]
	v_mov_b32_e32 v8, 0
	v_mov_b32_e32 v20, 0
	s_waitcnt lgkmcnt(0)
	s_barrier
	s_and_saveexec_b64 s[26:27], s[4:5]
; %bb.23:
	ds_read_b32 v20, v13
; %bb.24:
	s_or_b64 exec, exec, s[26:27]
	s_waitcnt lgkmcnt(0)
	v_add_u32_e32 v3, v20, v3
	ds_bpermute_b32 v3, v12, v3
	s_mov_b32 s26, 0
	s_mov_b32 s28, s26
	;; [unrolled: 1-line block ×4, first 2 shown]
	s_waitcnt lgkmcnt(0)
	v_cndmask_b32_e64 v3, v3, v20, s[0:1]
	v_cndmask_b32_e64 v20, v3, 0, s[2:3]
	v_add_u32_e32 v21, v20, v0
	v_add_u32_e32 v0, v21, v1
	;; [unrolled: 1-line block ×3, first 2 shown]
	ds_write2_b64 v10, v[20:21], v[0:1] offset0:2 offset1:3
	s_waitcnt lgkmcnt(0)
	s_barrier
	ds_read_b32 v0, v19 offset:16
	v_lshlrev_b32_e32 v1, 2, v9
	s_waitcnt lgkmcnt(0)
	s_barrier
	v_lshl_add_u32 v0, v0, 2, v1
	ds_write_b32 v0, v18
	s_waitcnt lgkmcnt(0)
	s_barrier
	ds_read_b32 v18, v16
	s_waitcnt lgkmcnt(0)
	s_barrier
	ds_write_b32 v0, v17
	v_mov_b32_e32 v0, s26
	v_mov_b32_e32 v2, s28
	;; [unrolled: 1-line block ×4, first 2 shown]
	s_waitcnt lgkmcnt(0)
	s_barrier
	ds_read_b32 v19, v16
	s_waitcnt lgkmcnt(0)
	s_barrier
	ds_write2_b64 v10, v[0:1], v[2:3] offset0:2 offset1:3
	v_lshrrev_b32_e32 v0, 8, v18
	v_mov_b32_e32 v1, 4
	v_lshlrev_b32_sdwa v2, v1, v0 dst_sel:DWORD dst_unused:UNUSED_PAD src0_sel:DWORD src1_sel:BYTE_0
	v_and_b32_e32 v1, 1, v0
	v_add_co_u32_e32 v3, vcc, -1, v1
	v_addc_co_u32_e64 v9, s[26:27], 0, -1, vcc
	v_cmp_ne_u32_e32 vcc, 0, v1
	v_xor_b32_e32 v1, vcc_hi, v9
	v_lshlrev_b32_e32 v9, 30, v0
	v_xor_b32_e32 v3, vcc_lo, v3
	v_cmp_gt_i64_e32 vcc, 0, v[8:9]
	v_not_b32_e32 v9, v9
	v_ashrrev_i32_e32 v9, 31, v9
	v_and_b32_e32 v3, exec_lo, v3
	v_xor_b32_e32 v17, vcc_hi, v9
	v_xor_b32_e32 v9, vcc_lo, v9
	v_and_b32_e32 v3, v3, v9
	v_lshlrev_b32_e32 v9, 29, v0
	v_cmp_gt_i64_e32 vcc, 0, v[8:9]
	v_not_b32_e32 v9, v9
	v_and_b32_e32 v1, exec_hi, v1
	v_ashrrev_i32_e32 v9, 31, v9
	v_and_b32_e32 v1, v1, v17
	v_xor_b32_e32 v17, vcc_hi, v9
	v_xor_b32_e32 v9, vcc_lo, v9
	v_and_b32_e32 v3, v3, v9
	v_lshlrev_b32_e32 v9, 28, v0
	v_cmp_gt_i64_e32 vcc, 0, v[8:9]
	v_not_b32_e32 v9, v9
	v_ashrrev_i32_e32 v9, 31, v9
	v_and_b32_e32 v1, v1, v17
	v_xor_b32_e32 v17, vcc_hi, v9
	v_xor_b32_e32 v9, vcc_lo, v9
	v_and_b32_e32 v3, v3, v9
	v_lshlrev_b32_e32 v9, 27, v0
	v_cmp_gt_i64_e32 vcc, 0, v[8:9]
	v_not_b32_e32 v9, v9
	;; [unrolled: 8-line block ×5, first 2 shown]
	v_ashrrev_i32_e32 v0, 31, v0
	v_xor_b32_e32 v8, vcc_hi, v0
	v_xor_b32_e32 v0, vcc_lo, v0
	v_and_b32_e32 v1, v1, v17
	v_and_b32_e32 v0, v3, v0
	;; [unrolled: 1-line block ×3, first 2 shown]
	v_mbcnt_lo_u32_b32 v3, v0, 0
	v_mbcnt_hi_u32_b32 v9, v1, v3
	v_cmp_ne_u64_e32 vcc, 0, v[0:1]
	v_cmp_eq_u32_e64 s[26:27], 0, v9
	s_and_b64 s[28:29], vcc, s[26:27]
	v_add_u32_e32 v17, v15, v2
	s_waitcnt lgkmcnt(0)
	s_barrier
	; wave barrier
	s_and_saveexec_b64 s[26:27], s[28:29]
; %bb.25:
	v_bcnt_u32_b32 v0, v0, 0
	v_bcnt_u32_b32 v0, v1, v0
	ds_write_b32 v17, v0 offset:16
; %bb.26:
	s_or_b64 exec, exec, s[26:27]
	; wave barrier
	s_waitcnt lgkmcnt(0)
	s_barrier
	ds_read2_b64 v[0:3], v10 offset0:2 offset1:3
	s_waitcnt lgkmcnt(0)
	v_add_u32_e32 v8, v1, v0
	v_add3_u32 v3, v8, v2, v3
	s_nop 1
	v_mov_b32_dpp v8, v3 row_shr:1 row_mask:0xf bank_mask:0xf
	v_cndmask_b32_e64 v8, v8, 0, s[24:25]
	v_add_u32_e32 v3, v8, v3
	s_nop 1
	v_mov_b32_dpp v8, v3 row_shr:2 row_mask:0xf bank_mask:0xf
	v_cndmask_b32_e64 v8, 0, v8, s[22:23]
	v_add_u32_e32 v3, v3, v8
	;; [unrolled: 4-line block ×4, first 2 shown]
	s_nop 1
	v_mov_b32_dpp v8, v3 row_bcast:15 row_mask:0xf bank_mask:0xf
	v_cndmask_b32_e64 v8, v8, 0, s[16:17]
	v_add_u32_e32 v3, v3, v8
	s_nop 1
	v_mov_b32_dpp v8, v3 row_bcast:31 row_mask:0xf bank_mask:0xf
	v_cndmask_b32_e64 v8, 0, v8, s[12:13]
	v_add_u32_e32 v3, v3, v8
	s_and_saveexec_b64 s[26:27], s[14:15]
; %bb.27:
	ds_write_b32 v14, v3
; %bb.28:
	s_or_b64 exec, exec, s[26:27]
	s_waitcnt lgkmcnt(0)
	s_barrier
	s_and_saveexec_b64 s[26:27], s[6:7]
	s_cbranch_execz .LBB51_30
; %bb.29:
	ds_read_b32 v8, v11
	s_waitcnt lgkmcnt(0)
	s_nop 0
	v_mov_b32_dpp v20, v8 row_shr:1 row_mask:0xf bank_mask:0xf
	v_cndmask_b32_e64 v20, v20, 0, s[10:11]
	v_add_u32_e32 v8, v20, v8
	s_nop 1
	v_mov_b32_dpp v20, v8 row_shr:2 row_mask:0xf bank_mask:0xf
	v_cndmask_b32_e64 v20, 0, v20, s[8:9]
	v_add_u32_e32 v8, v8, v20
	ds_write_b32 v11, v8
.LBB51_30:
	s_or_b64 exec, exec, s[26:27]
	v_mov_b32_e32 v8, 0
	v_mov_b32_e32 v20, 0
	s_waitcnt lgkmcnt(0)
	s_barrier
	s_and_saveexec_b64 s[26:27], s[4:5]
; %bb.31:
	ds_read_b32 v20, v13
; %bb.32:
	s_or_b64 exec, exec, s[26:27]
	s_waitcnt lgkmcnt(0)
	v_add_u32_e32 v3, v20, v3
	ds_bpermute_b32 v3, v12, v3
	s_mov_b32 s26, 0
	s_mov_b32 s28, s26
	s_mov_b32 s27, s26
	s_mov_b32 s29, s26
	s_waitcnt lgkmcnt(0)
	v_cndmask_b32_e64 v3, v3, v20, s[0:1]
	v_cndmask_b32_e64 v20, v3, 0, s[2:3]
	v_add_u32_e32 v21, v20, v0
	v_add_u32_e32 v0, v21, v1
	;; [unrolled: 1-line block ×3, first 2 shown]
	ds_write2_b64 v10, v[20:21], v[0:1] offset0:2 offset1:3
	s_waitcnt lgkmcnt(0)
	s_barrier
	ds_read_b32 v0, v17 offset:16
	v_lshlrev_b32_e32 v1, 2, v9
	s_waitcnt lgkmcnt(0)
	s_barrier
	v_lshl_add_u32 v0, v0, 2, v1
	ds_write_b32 v0, v18
	s_waitcnt lgkmcnt(0)
	s_barrier
	ds_read_b32 v17, v16
	s_waitcnt lgkmcnt(0)
	s_barrier
	ds_write_b32 v0, v19
	v_mov_b32_e32 v0, s26
	v_mov_b32_e32 v2, s28
	;; [unrolled: 1-line block ×4, first 2 shown]
	s_movk_i32 s26, 0xff
	s_waitcnt lgkmcnt(0)
	s_barrier
	ds_read_b32 v18, v16
	s_waitcnt lgkmcnt(0)
	s_barrier
	ds_write2_b64 v10, v[0:1], v[2:3] offset0:2 offset1:3
	v_and_b32_sdwa v0, v17, s26 dst_sel:DWORD dst_unused:UNUSED_PAD src0_sel:WORD_1 src1_sel:DWORD
	v_lshlrev_b32_e32 v2, 4, v0
	v_mov_b32_e32 v0, 1
	v_and_b32_sdwa v0, v17, v0 dst_sel:DWORD dst_unused:UNUSED_PAD src0_sel:WORD_1 src1_sel:DWORD
	v_add_co_u32_e32 v1, vcc, -1, v0
	v_addc_co_u32_e64 v3, s[26:27], 0, -1, vcc
	v_cmp_ne_u32_e32 vcc, 0, v0
	v_xor_b32_e32 v0, vcc_hi, v3
	v_mov_b32_e32 v3, 30
	v_lshlrev_b32_sdwa v9, v3, v17 dst_sel:DWORD dst_unused:UNUSED_PAD src0_sel:DWORD src1_sel:WORD_1
	v_xor_b32_e32 v1, vcc_lo, v1
	v_cmp_gt_i64_e32 vcc, 0, v[8:9]
	v_not_b32_e32 v3, v9
	v_ashrrev_i32_e32 v3, 31, v3
	v_and_b32_e32 v1, exec_lo, v1
	v_xor_b32_e32 v9, vcc_hi, v3
	v_xor_b32_e32 v3, vcc_lo, v3
	v_and_b32_e32 v0, exec_hi, v0
	v_and_b32_e32 v1, v1, v3
	v_mov_b32_e32 v3, 29
	v_and_b32_e32 v0, v0, v9
	v_lshlrev_b32_sdwa v9, v3, v17 dst_sel:DWORD dst_unused:UNUSED_PAD src0_sel:DWORD src1_sel:WORD_1
	v_cmp_gt_i64_e32 vcc, 0, v[8:9]
	v_not_b32_e32 v3, v9
	v_ashrrev_i32_e32 v3, 31, v3
	v_xor_b32_e32 v9, vcc_hi, v3
	v_xor_b32_e32 v3, vcc_lo, v3
	v_and_b32_e32 v1, v1, v3
	v_mov_b32_e32 v3, 28
	v_and_b32_e32 v0, v0, v9
	v_lshlrev_b32_sdwa v9, v3, v17 dst_sel:DWORD dst_unused:UNUSED_PAD src0_sel:DWORD src1_sel:WORD_1
	v_cmp_gt_i64_e32 vcc, 0, v[8:9]
	v_not_b32_e32 v3, v9
	v_ashrrev_i32_e32 v3, 31, v3
	v_xor_b32_e32 v9, vcc_hi, v3
	v_xor_b32_e32 v3, vcc_lo, v3
	;; [unrolled: 9-line block ×6, first 2 shown]
	v_and_b32_e32 v1, v0, v8
	v_and_b32_e32 v0, v3, v9
	v_mbcnt_lo_u32_b32 v3, v0, 0
	v_mbcnt_hi_u32_b32 v9, v1, v3
	v_cmp_ne_u64_e32 vcc, 0, v[0:1]
	v_cmp_eq_u32_e64 s[26:27], 0, v9
	s_and_b64 s[28:29], vcc, s[26:27]
	v_add_u32_e32 v19, v15, v2
	s_waitcnt lgkmcnt(0)
	s_barrier
	; wave barrier
	s_and_saveexec_b64 s[26:27], s[28:29]
; %bb.33:
	v_bcnt_u32_b32 v0, v0, 0
	v_bcnt_u32_b32 v0, v1, v0
	ds_write_b32 v19, v0 offset:16
; %bb.34:
	s_or_b64 exec, exec, s[26:27]
	; wave barrier
	s_waitcnt lgkmcnt(0)
	s_barrier
	ds_read2_b64 v[0:3], v10 offset0:2 offset1:3
	s_waitcnt lgkmcnt(0)
	v_add_u32_e32 v8, v1, v0
	v_add3_u32 v3, v8, v2, v3
	s_nop 1
	v_mov_b32_dpp v8, v3 row_shr:1 row_mask:0xf bank_mask:0xf
	v_cndmask_b32_e64 v8, v8, 0, s[24:25]
	v_add_u32_e32 v3, v8, v3
	s_nop 1
	v_mov_b32_dpp v8, v3 row_shr:2 row_mask:0xf bank_mask:0xf
	v_cndmask_b32_e64 v8, 0, v8, s[22:23]
	v_add_u32_e32 v3, v3, v8
	;; [unrolled: 4-line block ×4, first 2 shown]
	s_nop 1
	v_mov_b32_dpp v8, v3 row_bcast:15 row_mask:0xf bank_mask:0xf
	v_cndmask_b32_e64 v8, v8, 0, s[16:17]
	v_add_u32_e32 v3, v3, v8
	s_nop 1
	v_mov_b32_dpp v8, v3 row_bcast:31 row_mask:0xf bank_mask:0xf
	v_cndmask_b32_e64 v8, 0, v8, s[12:13]
	v_add_u32_e32 v3, v3, v8
	s_and_saveexec_b64 s[26:27], s[14:15]
; %bb.35:
	ds_write_b32 v14, v3
; %bb.36:
	s_or_b64 exec, exec, s[26:27]
	s_waitcnt lgkmcnt(0)
	s_barrier
	s_and_saveexec_b64 s[26:27], s[6:7]
	s_cbranch_execz .LBB51_38
; %bb.37:
	ds_read_b32 v8, v11
	s_waitcnt lgkmcnt(0)
	s_nop 0
	v_mov_b32_dpp v20, v8 row_shr:1 row_mask:0xf bank_mask:0xf
	v_cndmask_b32_e64 v20, v20, 0, s[10:11]
	v_add_u32_e32 v8, v20, v8
	s_nop 1
	v_mov_b32_dpp v20, v8 row_shr:2 row_mask:0xf bank_mask:0xf
	v_cndmask_b32_e64 v20, 0, v20, s[8:9]
	v_add_u32_e32 v8, v8, v20
	ds_write_b32 v11, v8
.LBB51_38:
	s_or_b64 exec, exec, s[26:27]
	v_mov_b32_e32 v8, 0
	v_mov_b32_e32 v20, 0
	s_waitcnt lgkmcnt(0)
	s_barrier
	s_and_saveexec_b64 s[26:27], s[4:5]
; %bb.39:
	ds_read_b32 v20, v13
; %bb.40:
	s_or_b64 exec, exec, s[26:27]
	s_waitcnt lgkmcnt(0)
	v_add_u32_e32 v3, v20, v3
	ds_bpermute_b32 v3, v12, v3
	s_mov_b32 s26, 0
	s_mov_b32 s28, s26
	;; [unrolled: 1-line block ×4, first 2 shown]
	s_waitcnt lgkmcnt(0)
	v_cndmask_b32_e64 v3, v3, v20, s[0:1]
	v_cndmask_b32_e64 v20, v3, 0, s[2:3]
	v_add_u32_e32 v21, v20, v0
	v_add_u32_e32 v0, v21, v1
	;; [unrolled: 1-line block ×3, first 2 shown]
	ds_write2_b64 v10, v[20:21], v[0:1] offset0:2 offset1:3
	s_waitcnt lgkmcnt(0)
	s_barrier
	ds_read_b32 v0, v19 offset:16
	v_lshlrev_b32_e32 v1, 2, v9
	s_waitcnt lgkmcnt(0)
	s_barrier
	v_lshl_add_u32 v0, v0, 2, v1
	ds_write_b32 v0, v17
	s_waitcnt lgkmcnt(0)
	s_barrier
	ds_read_b32 v17, v16
	s_waitcnt lgkmcnt(0)
	s_barrier
	ds_write_b32 v0, v18
	v_mov_b32_e32 v0, s26
	v_mov_b32_e32 v2, s28
	;; [unrolled: 1-line block ×4, first 2 shown]
	s_waitcnt lgkmcnt(0)
	s_barrier
	ds_read_b32 v16, v16
	s_waitcnt lgkmcnt(0)
	s_barrier
	ds_write2_b64 v10, v[0:1], v[2:3] offset0:2 offset1:3
	v_mov_b32_e32 v0, 4
	v_lshlrev_b32_sdwa v2, v0, v17 dst_sel:DWORD dst_unused:UNUSED_PAD src0_sel:DWORD src1_sel:BYTE_3
	v_mov_b32_e32 v0, 1
	v_and_b32_sdwa v0, v17, v0 dst_sel:DWORD dst_unused:UNUSED_PAD src0_sel:BYTE_3 src1_sel:DWORD
	v_add_co_u32_e32 v1, vcc, -1, v0
	v_addc_co_u32_e64 v3, s[26:27], 0, -1, vcc
	v_cmp_ne_u32_e32 vcc, 0, v0
	v_xor_b32_e32 v0, vcc_hi, v3
	v_mov_b32_e32 v3, 30
	v_lshlrev_b32_sdwa v9, v3, v17 dst_sel:DWORD dst_unused:UNUSED_PAD src0_sel:DWORD src1_sel:BYTE_3
	v_xor_b32_e32 v1, vcc_lo, v1
	v_cmp_gt_i64_e32 vcc, 0, v[8:9]
	v_not_b32_e32 v3, v9
	v_ashrrev_i32_e32 v3, 31, v3
	v_and_b32_e32 v1, exec_lo, v1
	v_xor_b32_e32 v9, vcc_hi, v3
	v_xor_b32_e32 v3, vcc_lo, v3
	v_and_b32_e32 v0, exec_hi, v0
	v_and_b32_e32 v1, v1, v3
	v_mov_b32_e32 v3, 29
	v_and_b32_e32 v0, v0, v9
	v_lshlrev_b32_sdwa v9, v3, v17 dst_sel:DWORD dst_unused:UNUSED_PAD src0_sel:DWORD src1_sel:BYTE_3
	v_cmp_gt_i64_e32 vcc, 0, v[8:9]
	v_not_b32_e32 v3, v9
	v_ashrrev_i32_e32 v3, 31, v3
	v_xor_b32_e32 v9, vcc_hi, v3
	v_xor_b32_e32 v3, vcc_lo, v3
	v_and_b32_e32 v1, v1, v3
	v_mov_b32_e32 v3, 28
	v_and_b32_e32 v0, v0, v9
	v_lshlrev_b32_sdwa v9, v3, v17 dst_sel:DWORD dst_unused:UNUSED_PAD src0_sel:DWORD src1_sel:BYTE_3
	v_cmp_gt_i64_e32 vcc, 0, v[8:9]
	v_not_b32_e32 v3, v9
	v_ashrrev_i32_e32 v3, 31, v3
	v_xor_b32_e32 v9, vcc_hi, v3
	v_xor_b32_e32 v3, vcc_lo, v3
	;; [unrolled: 9-line block ×6, first 2 shown]
	v_and_b32_e32 v1, v0, v8
	v_and_b32_e32 v0, v3, v9
	v_mbcnt_lo_u32_b32 v3, v0, 0
	v_mbcnt_hi_u32_b32 v8, v1, v3
	v_cmp_ne_u64_e32 vcc, 0, v[0:1]
	v_cmp_eq_u32_e64 s[26:27], 0, v8
	s_and_b64 s[28:29], vcc, s[26:27]
	v_add_u32_e32 v9, v15, v2
	s_waitcnt lgkmcnt(0)
	s_barrier
	; wave barrier
	s_and_saveexec_b64 s[26:27], s[28:29]
; %bb.41:
	v_bcnt_u32_b32 v0, v0, 0
	v_bcnt_u32_b32 v0, v1, v0
	ds_write_b32 v9, v0 offset:16
; %bb.42:
	s_or_b64 exec, exec, s[26:27]
	; wave barrier
	s_waitcnt lgkmcnt(0)
	s_barrier
	ds_read2_b64 v[0:3], v10 offset0:2 offset1:3
	s_waitcnt lgkmcnt(0)
	v_add_u32_e32 v15, v1, v0
	v_add3_u32 v3, v15, v2, v3
	s_nop 1
	v_mov_b32_dpp v15, v3 row_shr:1 row_mask:0xf bank_mask:0xf
	v_cndmask_b32_e64 v15, v15, 0, s[24:25]
	v_add_u32_e32 v3, v15, v3
	s_nop 1
	v_mov_b32_dpp v15, v3 row_shr:2 row_mask:0xf bank_mask:0xf
	v_cndmask_b32_e64 v15, 0, v15, s[22:23]
	v_add_u32_e32 v3, v3, v15
	;; [unrolled: 4-line block ×4, first 2 shown]
	s_nop 1
	v_mov_b32_dpp v15, v3 row_bcast:15 row_mask:0xf bank_mask:0xf
	v_cndmask_b32_e64 v15, v15, 0, s[16:17]
	v_add_u32_e32 v3, v3, v15
	s_nop 1
	v_mov_b32_dpp v15, v3 row_bcast:31 row_mask:0xf bank_mask:0xf
	v_cndmask_b32_e64 v15, 0, v15, s[12:13]
	v_add_u32_e32 v3, v3, v15
	s_and_saveexec_b64 s[12:13], s[14:15]
; %bb.43:
	ds_write_b32 v14, v3
; %bb.44:
	s_or_b64 exec, exec, s[12:13]
	s_waitcnt lgkmcnt(0)
	s_barrier
	s_and_saveexec_b64 s[12:13], s[6:7]
	s_cbranch_execz .LBB51_46
; %bb.45:
	ds_read_b32 v14, v11
	s_waitcnt lgkmcnt(0)
	s_nop 0
	v_mov_b32_dpp v15, v14 row_shr:1 row_mask:0xf bank_mask:0xf
	v_cndmask_b32_e64 v15, v15, 0, s[10:11]
	v_add_u32_e32 v14, v15, v14
	s_nop 1
	v_mov_b32_dpp v15, v14 row_shr:2 row_mask:0xf bank_mask:0xf
	v_cndmask_b32_e64 v15, 0, v15, s[8:9]
	v_add_u32_e32 v14, v14, v15
	ds_write_b32 v11, v14
.LBB51_46:
	s_or_b64 exec, exec, s[12:13]
	v_mov_b32_e32 v14, 0
	s_waitcnt lgkmcnt(0)
	s_barrier
	s_and_saveexec_b64 s[6:7], s[4:5]
; %bb.47:
	ds_read_b32 v14, v13
; %bb.48:
	s_or_b64 exec, exec, s[6:7]
	s_waitcnt lgkmcnt(0)
	v_add_u32_e32 v3, v14, v3
	ds_bpermute_b32 v3, v12, v3
	s_waitcnt lgkmcnt(0)
	v_cndmask_b32_e64 v3, v3, v14, s[0:1]
	v_cndmask_b32_e64 v12, v3, 0, s[2:3]
	v_add_u32_e32 v13, v12, v0
	v_add_u32_e32 v0, v13, v1
	;; [unrolled: 1-line block ×3, first 2 shown]
	ds_write2_b64 v10, v[12:13], v[0:1] offset0:2 offset1:3
	s_waitcnt lgkmcnt(0)
	s_barrier
	ds_read_b32 v0, v9 offset:16
	v_lshlrev_b32_e32 v1, 2, v8
	s_waitcnt lgkmcnt(0)
	s_barrier
	v_lshl_add_u32 v0, v0, 2, v1
	ds_write_b32 v0, v17
	s_waitcnt lgkmcnt(0)
	s_barrier
	ds_read_b32 v1, v11
	s_waitcnt lgkmcnt(0)
	s_barrier
	ds_write_b32 v0, v16
	s_waitcnt lgkmcnt(0)
	s_barrier
.LBB51_49:
	ds_read_b32 v0, v11
	global_store_dword v[4:5], v1, off
	s_waitcnt lgkmcnt(0)
	global_store_dword v[6:7], v0, off
	s_endpgm
	.section	.rodata,"a",@progbits
	.p2align	6, 0x0
	.amdhsa_kernel _Z21sort_key_value_kernelILj256ELj1ELb0ELb0EjiEvPT3_PT4_jj
		.amdhsa_group_segment_fixed_size 4112
		.amdhsa_private_segment_fixed_size 0
		.amdhsa_kernarg_size 280
		.amdhsa_user_sgpr_count 6
		.amdhsa_user_sgpr_private_segment_buffer 1
		.amdhsa_user_sgpr_dispatch_ptr 0
		.amdhsa_user_sgpr_queue_ptr 0
		.amdhsa_user_sgpr_kernarg_segment_ptr 1
		.amdhsa_user_sgpr_dispatch_id 0
		.amdhsa_user_sgpr_flat_scratch_init 0
		.amdhsa_user_sgpr_private_segment_size 0
		.amdhsa_uses_dynamic_stack 0
		.amdhsa_system_sgpr_private_segment_wavefront_offset 0
		.amdhsa_system_sgpr_workgroup_id_x 1
		.amdhsa_system_sgpr_workgroup_id_y 0
		.amdhsa_system_sgpr_workgroup_id_z 0
		.amdhsa_system_sgpr_workgroup_info 0
		.amdhsa_system_vgpr_workitem_id 2
		.amdhsa_next_free_vgpr 28
		.amdhsa_next_free_sgpr 38
		.amdhsa_reserve_vcc 1
		.amdhsa_reserve_flat_scratch 0
		.amdhsa_float_round_mode_32 0
		.amdhsa_float_round_mode_16_64 0
		.amdhsa_float_denorm_mode_32 3
		.amdhsa_float_denorm_mode_16_64 3
		.amdhsa_dx10_clamp 1
		.amdhsa_ieee_mode 1
		.amdhsa_fp16_overflow 0
		.amdhsa_exception_fp_ieee_invalid_op 0
		.amdhsa_exception_fp_denorm_src 0
		.amdhsa_exception_fp_ieee_div_zero 0
		.amdhsa_exception_fp_ieee_overflow 0
		.amdhsa_exception_fp_ieee_underflow 0
		.amdhsa_exception_fp_ieee_inexact 0
		.amdhsa_exception_int_div_zero 0
	.end_amdhsa_kernel
	.section	.text._Z21sort_key_value_kernelILj256ELj1ELb0ELb0EjiEvPT3_PT4_jj,"axG",@progbits,_Z21sort_key_value_kernelILj256ELj1ELb0ELb0EjiEvPT3_PT4_jj,comdat
.Lfunc_end51:
	.size	_Z21sort_key_value_kernelILj256ELj1ELb0ELb0EjiEvPT3_PT4_jj, .Lfunc_end51-_Z21sort_key_value_kernelILj256ELj1ELb0ELb0EjiEvPT3_PT4_jj
                                        ; -- End function
	.set _Z21sort_key_value_kernelILj256ELj1ELb0ELb0EjiEvPT3_PT4_jj.num_vgpr, 28
	.set _Z21sort_key_value_kernelILj256ELj1ELb0ELb0EjiEvPT3_PT4_jj.num_agpr, 0
	.set _Z21sort_key_value_kernelILj256ELj1ELb0ELb0EjiEvPT3_PT4_jj.numbered_sgpr, 38
	.set _Z21sort_key_value_kernelILj256ELj1ELb0ELb0EjiEvPT3_PT4_jj.num_named_barrier, 0
	.set _Z21sort_key_value_kernelILj256ELj1ELb0ELb0EjiEvPT3_PT4_jj.private_seg_size, 0
	.set _Z21sort_key_value_kernelILj256ELj1ELb0ELb0EjiEvPT3_PT4_jj.uses_vcc, 1
	.set _Z21sort_key_value_kernelILj256ELj1ELb0ELb0EjiEvPT3_PT4_jj.uses_flat_scratch, 0
	.set _Z21sort_key_value_kernelILj256ELj1ELb0ELb0EjiEvPT3_PT4_jj.has_dyn_sized_stack, 0
	.set _Z21sort_key_value_kernelILj256ELj1ELb0ELb0EjiEvPT3_PT4_jj.has_recursion, 0
	.set _Z21sort_key_value_kernelILj256ELj1ELb0ELb0EjiEvPT3_PT4_jj.has_indirect_call, 0
	.section	.AMDGPU.csdata,"",@progbits
; Kernel info:
; codeLenInByte = 4948
; TotalNumSgprs: 42
; NumVgprs: 28
; ScratchSize: 0
; MemoryBound: 0
; FloatMode: 240
; IeeeMode: 1
; LDSByteSize: 4112 bytes/workgroup (compile time only)
; SGPRBlocks: 5
; VGPRBlocks: 6
; NumSGPRsForWavesPerEU: 42
; NumVGPRsForWavesPerEU: 28
; Occupancy: 9
; WaveLimiterHint : 0
; COMPUTE_PGM_RSRC2:SCRATCH_EN: 0
; COMPUTE_PGM_RSRC2:USER_SGPR: 6
; COMPUTE_PGM_RSRC2:TRAP_HANDLER: 0
; COMPUTE_PGM_RSRC2:TGID_X_EN: 1
; COMPUTE_PGM_RSRC2:TGID_Y_EN: 0
; COMPUTE_PGM_RSRC2:TGID_Z_EN: 0
; COMPUTE_PGM_RSRC2:TIDIG_COMP_CNT: 2
	.section	.text._Z21sort_key_value_kernelILj128ELj1ELb0ELb0EiiEvPT3_PT4_jj,"axG",@progbits,_Z21sort_key_value_kernelILj128ELj1ELb0ELb0EiiEvPT3_PT4_jj,comdat
	.protected	_Z21sort_key_value_kernelILj128ELj1ELb0ELb0EiiEvPT3_PT4_jj ; -- Begin function _Z21sort_key_value_kernelILj128ELj1ELb0ELb0EiiEvPT3_PT4_jj
	.globl	_Z21sort_key_value_kernelILj128ELj1ELb0ELb0EiiEvPT3_PT4_jj
	.p2align	8
	.type	_Z21sort_key_value_kernelILj128ELj1ELb0ELb0EiiEvPT3_PT4_jj,@function
_Z21sort_key_value_kernelILj128ELj1ELb0ELb0EiiEvPT3_PT4_jj: ; @_Z21sort_key_value_kernelILj128ELj1ELb0ELb0EiiEvPT3_PT4_jj
; %bb.0:
	s_load_dwordx4 s[0:3], s[4:5], 0x0
	s_load_dwordx2 s[30:31], s[4:5], 0x10
	s_lshl_b32 s24, s6, 7
	s_mov_b32 s25, 0
	s_lshl_b64 s[6:7], s[24:25], 2
	s_waitcnt lgkmcnt(0)
	s_add_u32 s26, s0, s6
	s_addc_u32 s27, s1, s7
	v_lshlrev_b32_e32 v20, 2, v0
	s_add_u32 s28, s2, s6
	global_load_dword v19, v20, s[26:27]
	s_addc_u32 s29, s3, s7
	global_load_dword v17, v20, s[28:29]
	s_load_dword s24, s[4:5], 0x24
	s_cmp_eq_u32 s30, 0
	v_mbcnt_lo_u32_b32 v3, -1, 0
	s_cselect_b64 s[34:35], -1, 0
	s_cmp_eq_u32 s31, 32
	v_mbcnt_hi_u32_b32 v3, -1, v3
	v_and_b32_e32 v5, 64, v0
	v_mov_b32_e32 v22, s27
	s_cselect_b64 s[36:37], -1, 0
	s_waitcnt lgkmcnt(0)
	s_lshr_b32 s27, s24, 16
	v_or_b32_e32 v9, 63, v5
	v_subrev_co_u32_e64 v12, s[4:5], 1, v3
	v_and_b32_e32 v13, 64, v3
	s_and_b32 s24, s24, 0xffff
	v_mad_u32_u24 v1, v2, s27, v1
	v_lshlrev_b32_e32 v10, 4, v0
	v_cmp_gt_u32_e64 s[6:7], 2, v0
	v_cmp_lt_u32_e64 s[2:3], 63, v0
	v_cmp_eq_u32_e64 s[0:1], 0, v0
	v_lshrrev_b32_e32 v6, 4, v0
	v_mul_i32_i24_e32 v11, -12, v0
	v_and_b32_e32 v7, 15, v3
	v_cmp_eq_u32_e64 s[12:13], v0, v9
	v_cmp_lt_i32_e32 vcc, v12, v13
	v_mad_u32_u24 v0, v1, s24, v0
	v_and_b32_e32 v8, 16, v3
	v_and_b32_e32 v14, 4, v6
	;; [unrolled: 1-line block ×3, first 2 shown]
	v_lshlrev_b32_e32 v5, 2, v5
	v_cmp_eq_u32_e64 s[22:23], 0, v7
	v_cmp_lt_u32_e64 s[20:21], 1, v7
	v_cmp_lt_u32_e64 s[18:19], 3, v7
	;; [unrolled: 1-line block ×3, first 2 shown]
	v_cndmask_b32_e32 v7, v12, v3, vcc
	s_and_b64 s[34:35], s[34:35], s[36:37]
	v_lshrrev_b32_e32 v0, 4, v0
	v_mov_b32_e32 v4, 0
	v_cmp_lt_u32_e64 s[10:11], 31, v3
	v_cmp_eq_u32_e64 s[14:15], 0, v8
	v_cmp_eq_u32_e64 s[8:9], 0, v6
	v_add_u32_e32 v13, -4, v14
	v_lshl_add_u32 v16, v3, 2, v5
	v_lshlrev_b32_e32 v12, 2, v7
	v_mov_b32_e32 v21, s29
	s_and_b64 vcc, exec, s[34:35]
	v_and_b32_e32 v15, 0xffffffc, v0
	s_waitcnt vmcnt(1)
	v_xor_b32_e32 v18, 0x80000000, v19
	s_cbranch_vccnz .LBB52_13
; %bb.1:
	s_sub_i32 s24, s31, s30
	v_mov_b32_e32 v23, s24
	s_mov_b32 s24, s25
	s_mov_b32 s34, s25
	;; [unrolled: 1-line block ×3, first 2 shown]
	v_mov_b32_e32 v6, s24
	v_mov_b32_e32 v8, s34
	;; [unrolled: 1-line block ×4, first 2 shown]
	s_waitcnt vmcnt(0)
	v_mov_b32_e32 v2, v17
	v_mov_b32_e32 v1, v18
	s_branch .LBB52_3
.LBB52_2:                               ;   in Loop: Header=BB52_3 Depth=1
	s_andn2_b64 vcc, exec, s[24:25]
	s_cbranch_vccz .LBB52_14
.LBB52_3:                               ; =>This Inner Loop Header: Depth=1
	v_mov_b32_e32 v25, v1
	v_min_u32_e32 v0, 8, v23
	v_lshrrev_b32_e32 v1, s30, v25
	v_bfe_u32 v0, v1, 0, v0
	v_and_b32_e32 v1, 1, v0
	v_add_co_u32_e32 v3, vcc, -1, v1
	v_addc_co_u32_e64 v5, s[24:25], 0, -1, vcc
	v_cmp_ne_u32_e32 vcc, 0, v1
	v_xor_b32_e32 v1, vcc_hi, v5
	v_lshlrev_b32_e32 v5, 30, v0
	v_xor_b32_e32 v3, vcc_lo, v3
	v_cmp_gt_i64_e32 vcc, 0, v[4:5]
	v_not_b32_e32 v5, v5
	v_ashrrev_i32_e32 v5, 31, v5
	v_and_b32_e32 v3, exec_lo, v3
	v_xor_b32_e32 v26, vcc_hi, v5
	v_xor_b32_e32 v5, vcc_lo, v5
	v_and_b32_e32 v3, v3, v5
	v_lshlrev_b32_e32 v5, 29, v0
	v_cmp_gt_i64_e32 vcc, 0, v[4:5]
	v_not_b32_e32 v5, v5
	v_and_b32_e32 v1, exec_hi, v1
	v_ashrrev_i32_e32 v5, 31, v5
	v_and_b32_e32 v1, v1, v26
	v_xor_b32_e32 v26, vcc_hi, v5
	v_xor_b32_e32 v5, vcc_lo, v5
	v_and_b32_e32 v3, v3, v5
	v_lshlrev_b32_e32 v5, 28, v0
	v_cmp_gt_i64_e32 vcc, 0, v[4:5]
	v_not_b32_e32 v5, v5
	v_ashrrev_i32_e32 v5, 31, v5
	v_and_b32_e32 v1, v1, v26
	v_xor_b32_e32 v26, vcc_hi, v5
	v_xor_b32_e32 v5, vcc_lo, v5
	v_and_b32_e32 v3, v3, v5
	v_lshlrev_b32_e32 v5, 27, v0
	v_cmp_gt_i64_e32 vcc, 0, v[4:5]
	v_not_b32_e32 v5, v5
	;; [unrolled: 8-line block ×4, first 2 shown]
	v_ashrrev_i32_e32 v5, 31, v5
	v_and_b32_e32 v1, v1, v26
	v_xor_b32_e32 v26, vcc_hi, v5
	v_xor_b32_e32 v5, vcc_lo, v5
	v_and_b32_e32 v3, v3, v5
	v_lshlrev_b32_e32 v5, 24, v0
	v_mov_b32_e32 v24, v2
	v_lshlrev_b32_e32 v2, 3, v0
	v_cmp_gt_i64_e32 vcc, 0, v[4:5]
	v_not_b32_e32 v0, v5
	v_ashrrev_i32_e32 v0, 31, v0
	v_xor_b32_e32 v5, vcc_hi, v0
	v_xor_b32_e32 v0, vcc_lo, v0
	v_and_b32_e32 v1, v1, v26
	v_and_b32_e32 v0, v3, v0
	;; [unrolled: 1-line block ×3, first 2 shown]
	v_mbcnt_lo_u32_b32 v3, v0, 0
	v_mbcnt_hi_u32_b32 v5, v1, v3
	v_cmp_ne_u64_e32 vcc, 0, v[0:1]
	v_cmp_eq_u32_e64 s[24:25], 0, v5
	s_and_b64 s[34:35], vcc, s[24:25]
	v_add_u32_e32 v26, v15, v2
	ds_write2_b64 v10, v[6:7], v[8:9] offset0:1 offset1:2
	s_waitcnt lgkmcnt(0)
	s_barrier
	; wave barrier
	s_and_saveexec_b64 s[24:25], s[34:35]
; %bb.4:                                ;   in Loop: Header=BB52_3 Depth=1
	v_bcnt_u32_b32 v0, v0, 0
	v_bcnt_u32_b32 v0, v1, v0
	ds_write_b32 v26, v0 offset:8
; %bb.5:                                ;   in Loop: Header=BB52_3 Depth=1
	s_or_b64 exec, exec, s[24:25]
	; wave barrier
	s_waitcnt lgkmcnt(0)
	s_barrier
	ds_read2_b64 v[0:3], v10 offset0:1 offset1:2
	s_waitcnt lgkmcnt(0)
	v_add_u32_e32 v27, v1, v0
	v_add3_u32 v3, v27, v2, v3
	s_nop 1
	v_mov_b32_dpp v27, v3 row_shr:1 row_mask:0xf bank_mask:0xf
	v_cndmask_b32_e64 v27, v27, 0, s[22:23]
	v_add_u32_e32 v3, v27, v3
	s_nop 1
	v_mov_b32_dpp v27, v3 row_shr:2 row_mask:0xf bank_mask:0xf
	v_cndmask_b32_e64 v27, 0, v27, s[20:21]
	v_add_u32_e32 v3, v3, v27
	;; [unrolled: 4-line block ×4, first 2 shown]
	s_nop 1
	v_mov_b32_dpp v27, v3 row_bcast:15 row_mask:0xf bank_mask:0xf
	v_cndmask_b32_e64 v27, v27, 0, s[14:15]
	v_add_u32_e32 v3, v3, v27
	s_nop 1
	v_mov_b32_dpp v27, v3 row_bcast:31 row_mask:0xf bank_mask:0xf
	v_cndmask_b32_e64 v27, 0, v27, s[10:11]
	v_add_u32_e32 v3, v3, v27
	s_and_saveexec_b64 s[24:25], s[12:13]
; %bb.6:                                ;   in Loop: Header=BB52_3 Depth=1
	ds_write_b32 v14, v3
; %bb.7:                                ;   in Loop: Header=BB52_3 Depth=1
	s_or_b64 exec, exec, s[24:25]
	s_waitcnt lgkmcnt(0)
	s_barrier
	s_and_saveexec_b64 s[24:25], s[6:7]
	s_cbranch_execz .LBB52_9
; %bb.8:                                ;   in Loop: Header=BB52_3 Depth=1
	v_add_u32_e32 v27, v10, v11
	ds_read_b32 v28, v27
	s_waitcnt lgkmcnt(0)
	s_nop 0
	v_mov_b32_dpp v29, v28 row_shr:1 row_mask:0xf bank_mask:0xf
	v_cndmask_b32_e64 v29, v29, 0, s[8:9]
	v_add_u32_e32 v28, v29, v28
	ds_write_b32 v27, v28
.LBB52_9:                               ;   in Loop: Header=BB52_3 Depth=1
	s_or_b64 exec, exec, s[24:25]
	v_mov_b32_e32 v27, 0
	s_waitcnt lgkmcnt(0)
	s_barrier
	s_and_saveexec_b64 s[24:25], s[2:3]
; %bb.10:                               ;   in Loop: Header=BB52_3 Depth=1
	ds_read_b32 v27, v13
; %bb.11:                               ;   in Loop: Header=BB52_3 Depth=1
	s_or_b64 exec, exec, s[24:25]
	s_waitcnt lgkmcnt(0)
	v_add_u32_e32 v3, v27, v3
	ds_bpermute_b32 v3, v12, v3
	s_add_i32 s30, s30, 8
	s_cmp_ge_u32 s30, s31
	s_mov_b64 s[24:25], -1
	s_waitcnt lgkmcnt(0)
	v_cndmask_b32_e64 v3, v3, v27, s[4:5]
	v_cndmask_b32_e64 v27, v3, 0, s[0:1]
	v_add_u32_e32 v28, v27, v0
	v_add_u32_e32 v0, v28, v1
	;; [unrolled: 1-line block ×3, first 2 shown]
	ds_write2_b64 v10, v[27:28], v[0:1] offset0:1 offset1:2
	s_waitcnt lgkmcnt(0)
	s_barrier
	ds_read_b32 v0, v26 offset:8
	v_lshlrev_b32_e32 v1, 2, v5
	s_waitcnt lgkmcnt(0)
                                        ; implicit-def: $vgpr2
	v_lshl_add_u32 v0, v0, 2, v1
                                        ; implicit-def: $vgpr1
	s_cbranch_scc1 .LBB52_2
; %bb.12:                               ;   in Loop: Header=BB52_3 Depth=1
	s_barrier
	ds_write_b32 v0, v25
	s_waitcnt lgkmcnt(0)
	s_barrier
	ds_read_b32 v1, v16
	s_waitcnt lgkmcnt(0)
	s_barrier
	ds_write_b32 v0, v24
	s_waitcnt lgkmcnt(0)
	s_barrier
	ds_read_b32 v2, v16
	v_add_u32_e32 v23, -8, v23
	s_mov_b64 s[24:25], 0
	s_waitcnt lgkmcnt(0)
	s_barrier
	s_branch .LBB52_2
.LBB52_13:
	s_mov_b64 s[24:25], -1
                                        ; implicit-def: $vgpr1
	s_branch .LBB52_15
.LBB52_14:
	v_add_u32_e32 v1, v10, v11
	s_barrier
	ds_write_b32 v0, v25
	s_waitcnt lgkmcnt(0)
	s_barrier
	ds_read_b32 v1, v1
	s_mov_b64 s[24:25], 0
	s_waitcnt lgkmcnt(0)
	s_barrier
	ds_write_b32 v0, v24
	s_waitcnt lgkmcnt(0)
	s_barrier
.LBB52_15:
	v_add_co_u32_e32 v4, vcc, s26, v20
	v_addc_co_u32_e32 v5, vcc, 0, v22, vcc
	v_add_co_u32_e32 v6, vcc, s28, v20
	v_addc_co_u32_e32 v7, vcc, 0, v21, vcc
	s_and_b64 vcc, exec, s[24:25]
	s_cbranch_vccz .LBB52_49
; %bb.16:
	s_mov_b32 s24, 0
	s_mov_b32 s26, s24
	;; [unrolled: 1-line block ×4, first 2 shown]
	v_mov_b32_e32 v0, s24
	v_mov_b32_e32 v2, s26
	;; [unrolled: 1-line block ×4, first 2 shown]
	ds_write2_b64 v10, v[0:1], v[2:3] offset0:1 offset1:2
	v_and_b32_e32 v1, 1, v19
	v_add_co_u32_e32 v3, vcc, -1, v1
	v_addc_co_u32_e64 v8, s[24:25], 0, -1, vcc
	v_cmp_ne_u32_e32 vcc, 0, v1
	v_mov_b32_e32 v0, 3
	v_xor_b32_e32 v1, vcc_hi, v8
	v_lshlrev_b32_sdwa v2, v0, v19 dst_sel:DWORD dst_unused:UNUSED_PAD src0_sel:DWORD src1_sel:BYTE_0
	v_mov_b32_e32 v0, 0
	v_and_b32_e32 v8, exec_hi, v1
	v_lshlrev_b32_e32 v1, 30, v19
	v_xor_b32_e32 v3, vcc_lo, v3
	v_cmp_gt_i64_e32 vcc, 0, v[0:1]
	v_not_b32_e32 v1, v1
	v_ashrrev_i32_e32 v1, 31, v1
	v_and_b32_e32 v3, exec_lo, v3
	v_xor_b32_e32 v9, vcc_hi, v1
	v_xor_b32_e32 v1, vcc_lo, v1
	v_and_b32_e32 v3, v3, v1
	v_lshlrev_b32_e32 v1, 29, v19
	v_cmp_gt_i64_e32 vcc, 0, v[0:1]
	v_not_b32_e32 v1, v1
	v_ashrrev_i32_e32 v1, 31, v1
	v_and_b32_e32 v8, v8, v9
	v_xor_b32_e32 v9, vcc_hi, v1
	v_xor_b32_e32 v1, vcc_lo, v1
	v_and_b32_e32 v3, v3, v1
	v_lshlrev_b32_e32 v1, 28, v19
	v_cmp_gt_i64_e32 vcc, 0, v[0:1]
	v_not_b32_e32 v1, v1
	v_ashrrev_i32_e32 v1, 31, v1
	v_and_b32_e32 v8, v8, v9
	;; [unrolled: 8-line block ×5, first 2 shown]
	v_xor_b32_e32 v9, vcc_hi, v1
	v_xor_b32_e32 v1, vcc_lo, v1
	v_and_b32_e32 v3, v3, v1
	v_lshlrev_b32_e32 v1, 24, v19
	v_cmp_gt_i64_e32 vcc, 0, v[0:1]
	v_not_b32_e32 v0, v1
	v_ashrrev_i32_e32 v0, 31, v0
	v_xor_b32_e32 v1, vcc_hi, v0
	v_xor_b32_e32 v0, vcc_lo, v0
	v_and_b32_e32 v8, v8, v9
	v_and_b32_e32 v0, v3, v0
	;; [unrolled: 1-line block ×3, first 2 shown]
	v_mbcnt_lo_u32_b32 v3, v0, 0
	v_mbcnt_hi_u32_b32 v9, v1, v3
	v_cmp_ne_u64_e32 vcc, 0, v[0:1]
	v_cmp_eq_u32_e64 s[24:25], 0, v9
	s_and_b64 s[26:27], vcc, s[24:25]
	v_add_u32_e32 v19, v15, v2
	s_waitcnt vmcnt(0) lgkmcnt(0)
	s_barrier
	; wave barrier
	s_and_saveexec_b64 s[24:25], s[26:27]
; %bb.17:
	v_bcnt_u32_b32 v0, v0, 0
	v_bcnt_u32_b32 v0, v1, v0
	ds_write_b32 v19, v0 offset:8
; %bb.18:
	s_or_b64 exec, exec, s[24:25]
	; wave barrier
	s_waitcnt lgkmcnt(0)
	s_barrier
	ds_read2_b64 v[0:3], v10 offset0:1 offset1:2
	s_waitcnt lgkmcnt(0)
	v_add_u32_e32 v8, v1, v0
	v_add3_u32 v3, v8, v2, v3
	s_nop 1
	v_mov_b32_dpp v8, v3 row_shr:1 row_mask:0xf bank_mask:0xf
	v_cndmask_b32_e64 v8, v8, 0, s[22:23]
	v_add_u32_e32 v3, v8, v3
	s_nop 1
	v_mov_b32_dpp v8, v3 row_shr:2 row_mask:0xf bank_mask:0xf
	v_cndmask_b32_e64 v8, 0, v8, s[20:21]
	v_add_u32_e32 v3, v3, v8
	s_nop 1
	v_mov_b32_dpp v8, v3 row_shr:4 row_mask:0xf bank_mask:0xf
	v_cndmask_b32_e64 v8, 0, v8, s[18:19]
	v_add_u32_e32 v3, v3, v8
	s_nop 1
	v_mov_b32_dpp v8, v3 row_shr:8 row_mask:0xf bank_mask:0xf
	v_cndmask_b32_e64 v8, 0, v8, s[16:17]
	v_add_u32_e32 v3, v3, v8
	s_nop 1
	v_mov_b32_dpp v8, v3 row_bcast:15 row_mask:0xf bank_mask:0xf
	v_cndmask_b32_e64 v8, v8, 0, s[14:15]
	v_add_u32_e32 v3, v3, v8
	s_nop 1
	v_mov_b32_dpp v8, v3 row_bcast:31 row_mask:0xf bank_mask:0xf
	v_cndmask_b32_e64 v8, 0, v8, s[10:11]
	v_add_u32_e32 v3, v3, v8
	s_and_saveexec_b64 s[24:25], s[12:13]
; %bb.19:
	ds_write_b32 v14, v3
; %bb.20:
	s_or_b64 exec, exec, s[24:25]
	s_waitcnt lgkmcnt(0)
	s_barrier
	s_and_saveexec_b64 s[24:25], s[6:7]
	s_cbranch_execz .LBB52_22
; %bb.21:
	v_add_u32_e32 v8, v10, v11
	ds_read_b32 v20, v8
	s_waitcnt lgkmcnt(0)
	s_nop 0
	v_mov_b32_dpp v21, v20 row_shr:1 row_mask:0xf bank_mask:0xf
	v_cndmask_b32_e64 v21, v21, 0, s[8:9]
	v_add_u32_e32 v20, v21, v20
	ds_write_b32 v8, v20
.LBB52_22:
	s_or_b64 exec, exec, s[24:25]
	v_mov_b32_e32 v8, 0
	v_mov_b32_e32 v20, 0
	s_waitcnt lgkmcnt(0)
	s_barrier
	s_and_saveexec_b64 s[24:25], s[2:3]
; %bb.23:
	ds_read_b32 v20, v13
; %bb.24:
	s_or_b64 exec, exec, s[24:25]
	s_waitcnt lgkmcnt(0)
	v_add_u32_e32 v3, v20, v3
	ds_bpermute_b32 v3, v12, v3
	s_mov_b32 s24, 0
	s_mov_b32 s26, s24
	;; [unrolled: 1-line block ×4, first 2 shown]
	s_waitcnt lgkmcnt(0)
	v_cndmask_b32_e64 v3, v3, v20, s[4:5]
	v_cndmask_b32_e64 v20, v3, 0, s[0:1]
	v_add_u32_e32 v21, v20, v0
	v_add_u32_e32 v0, v21, v1
	;; [unrolled: 1-line block ×3, first 2 shown]
	ds_write2_b64 v10, v[20:21], v[0:1] offset0:1 offset1:2
	s_waitcnt lgkmcnt(0)
	s_barrier
	ds_read_b32 v0, v19 offset:8
	v_lshlrev_b32_e32 v1, 2, v9
	s_waitcnt lgkmcnt(0)
	s_barrier
	v_lshl_add_u32 v0, v0, 2, v1
	ds_write_b32 v0, v18
	s_waitcnt lgkmcnt(0)
	s_barrier
	ds_read_b32 v18, v16
	s_waitcnt lgkmcnt(0)
	s_barrier
	ds_write_b32 v0, v17
	v_mov_b32_e32 v0, s24
	v_mov_b32_e32 v2, s26
	;; [unrolled: 1-line block ×4, first 2 shown]
	s_waitcnt lgkmcnt(0)
	s_barrier
	ds_read_b32 v19, v16
	s_waitcnt lgkmcnt(0)
	s_barrier
	ds_write2_b64 v10, v[0:1], v[2:3] offset0:1 offset1:2
	v_lshrrev_b32_e32 v0, 8, v18
	v_mov_b32_e32 v1, 3
	v_lshlrev_b32_sdwa v2, v1, v0 dst_sel:DWORD dst_unused:UNUSED_PAD src0_sel:DWORD src1_sel:BYTE_0
	v_and_b32_e32 v1, 1, v0
	v_add_co_u32_e32 v3, vcc, -1, v1
	v_addc_co_u32_e64 v9, s[24:25], 0, -1, vcc
	v_cmp_ne_u32_e32 vcc, 0, v1
	v_xor_b32_e32 v1, vcc_hi, v9
	v_lshlrev_b32_e32 v9, 30, v0
	v_xor_b32_e32 v3, vcc_lo, v3
	v_cmp_gt_i64_e32 vcc, 0, v[8:9]
	v_not_b32_e32 v9, v9
	v_ashrrev_i32_e32 v9, 31, v9
	v_and_b32_e32 v3, exec_lo, v3
	v_xor_b32_e32 v17, vcc_hi, v9
	v_xor_b32_e32 v9, vcc_lo, v9
	v_and_b32_e32 v3, v3, v9
	v_lshlrev_b32_e32 v9, 29, v0
	v_cmp_gt_i64_e32 vcc, 0, v[8:9]
	v_not_b32_e32 v9, v9
	v_and_b32_e32 v1, exec_hi, v1
	v_ashrrev_i32_e32 v9, 31, v9
	v_and_b32_e32 v1, v1, v17
	v_xor_b32_e32 v17, vcc_hi, v9
	v_xor_b32_e32 v9, vcc_lo, v9
	v_and_b32_e32 v3, v3, v9
	v_lshlrev_b32_e32 v9, 28, v0
	v_cmp_gt_i64_e32 vcc, 0, v[8:9]
	v_not_b32_e32 v9, v9
	v_ashrrev_i32_e32 v9, 31, v9
	v_and_b32_e32 v1, v1, v17
	v_xor_b32_e32 v17, vcc_hi, v9
	v_xor_b32_e32 v9, vcc_lo, v9
	v_and_b32_e32 v3, v3, v9
	v_lshlrev_b32_e32 v9, 27, v0
	v_cmp_gt_i64_e32 vcc, 0, v[8:9]
	v_not_b32_e32 v9, v9
	;; [unrolled: 8-line block ×5, first 2 shown]
	v_ashrrev_i32_e32 v0, 31, v0
	v_xor_b32_e32 v8, vcc_hi, v0
	v_xor_b32_e32 v0, vcc_lo, v0
	v_and_b32_e32 v1, v1, v17
	v_and_b32_e32 v0, v3, v0
	v_and_b32_e32 v1, v1, v8
	v_mbcnt_lo_u32_b32 v3, v0, 0
	v_mbcnt_hi_u32_b32 v9, v1, v3
	v_cmp_ne_u64_e32 vcc, 0, v[0:1]
	v_cmp_eq_u32_e64 s[24:25], 0, v9
	s_and_b64 s[26:27], vcc, s[24:25]
	v_add_u32_e32 v17, v15, v2
	s_waitcnt lgkmcnt(0)
	s_barrier
	; wave barrier
	s_and_saveexec_b64 s[24:25], s[26:27]
; %bb.25:
	v_bcnt_u32_b32 v0, v0, 0
	v_bcnt_u32_b32 v0, v1, v0
	ds_write_b32 v17, v0 offset:8
; %bb.26:
	s_or_b64 exec, exec, s[24:25]
	; wave barrier
	s_waitcnt lgkmcnt(0)
	s_barrier
	ds_read2_b64 v[0:3], v10 offset0:1 offset1:2
	s_waitcnt lgkmcnt(0)
	v_add_u32_e32 v8, v1, v0
	v_add3_u32 v3, v8, v2, v3
	s_nop 1
	v_mov_b32_dpp v8, v3 row_shr:1 row_mask:0xf bank_mask:0xf
	v_cndmask_b32_e64 v8, v8, 0, s[22:23]
	v_add_u32_e32 v3, v8, v3
	s_nop 1
	v_mov_b32_dpp v8, v3 row_shr:2 row_mask:0xf bank_mask:0xf
	v_cndmask_b32_e64 v8, 0, v8, s[20:21]
	v_add_u32_e32 v3, v3, v8
	;; [unrolled: 4-line block ×4, first 2 shown]
	s_nop 1
	v_mov_b32_dpp v8, v3 row_bcast:15 row_mask:0xf bank_mask:0xf
	v_cndmask_b32_e64 v8, v8, 0, s[14:15]
	v_add_u32_e32 v3, v3, v8
	s_nop 1
	v_mov_b32_dpp v8, v3 row_bcast:31 row_mask:0xf bank_mask:0xf
	v_cndmask_b32_e64 v8, 0, v8, s[10:11]
	v_add_u32_e32 v3, v3, v8
	s_and_saveexec_b64 s[24:25], s[12:13]
; %bb.27:
	ds_write_b32 v14, v3
; %bb.28:
	s_or_b64 exec, exec, s[24:25]
	s_waitcnt lgkmcnt(0)
	s_barrier
	s_and_saveexec_b64 s[24:25], s[6:7]
	s_cbranch_execz .LBB52_30
; %bb.29:
	v_add_u32_e32 v8, v10, v11
	ds_read_b32 v20, v8
	s_waitcnt lgkmcnt(0)
	s_nop 0
	v_mov_b32_dpp v21, v20 row_shr:1 row_mask:0xf bank_mask:0xf
	v_cndmask_b32_e64 v21, v21, 0, s[8:9]
	v_add_u32_e32 v20, v21, v20
	ds_write_b32 v8, v20
.LBB52_30:
	s_or_b64 exec, exec, s[24:25]
	v_mov_b32_e32 v8, 0
	v_mov_b32_e32 v20, 0
	s_waitcnt lgkmcnt(0)
	s_barrier
	s_and_saveexec_b64 s[24:25], s[2:3]
; %bb.31:
	ds_read_b32 v20, v13
; %bb.32:
	s_or_b64 exec, exec, s[24:25]
	s_waitcnt lgkmcnt(0)
	v_add_u32_e32 v3, v20, v3
	ds_bpermute_b32 v3, v12, v3
	s_mov_b32 s24, 0
	s_mov_b32 s26, s24
	;; [unrolled: 1-line block ×4, first 2 shown]
	s_waitcnt lgkmcnt(0)
	v_cndmask_b32_e64 v3, v3, v20, s[4:5]
	v_cndmask_b32_e64 v20, v3, 0, s[0:1]
	v_add_u32_e32 v21, v20, v0
	v_add_u32_e32 v0, v21, v1
	;; [unrolled: 1-line block ×3, first 2 shown]
	ds_write2_b64 v10, v[20:21], v[0:1] offset0:1 offset1:2
	s_waitcnt lgkmcnt(0)
	s_barrier
	ds_read_b32 v0, v17 offset:8
	v_lshlrev_b32_e32 v1, 2, v9
	s_waitcnt lgkmcnt(0)
	s_barrier
	v_lshl_add_u32 v0, v0, 2, v1
	ds_write_b32 v0, v18
	s_waitcnt lgkmcnt(0)
	s_barrier
	ds_read_b32 v17, v16
	s_waitcnt lgkmcnt(0)
	s_barrier
	ds_write_b32 v0, v19
	v_mov_b32_e32 v0, s24
	v_mov_b32_e32 v2, s26
	;; [unrolled: 1-line block ×4, first 2 shown]
	s_movk_i32 s24, 0xff
	s_waitcnt lgkmcnt(0)
	s_barrier
	ds_read_b32 v18, v16
	s_waitcnt lgkmcnt(0)
	s_barrier
	ds_write2_b64 v10, v[0:1], v[2:3] offset0:1 offset1:2
	v_and_b32_sdwa v0, v17, s24 dst_sel:DWORD dst_unused:UNUSED_PAD src0_sel:WORD_1 src1_sel:DWORD
	v_lshlrev_b32_e32 v2, 3, v0
	v_mov_b32_e32 v0, 1
	v_and_b32_sdwa v0, v17, v0 dst_sel:DWORD dst_unused:UNUSED_PAD src0_sel:WORD_1 src1_sel:DWORD
	v_add_co_u32_e32 v1, vcc, -1, v0
	v_addc_co_u32_e64 v3, s[24:25], 0, -1, vcc
	v_cmp_ne_u32_e32 vcc, 0, v0
	v_xor_b32_e32 v0, vcc_hi, v3
	v_mov_b32_e32 v3, 30
	v_lshlrev_b32_sdwa v9, v3, v17 dst_sel:DWORD dst_unused:UNUSED_PAD src0_sel:DWORD src1_sel:WORD_1
	v_xor_b32_e32 v1, vcc_lo, v1
	v_cmp_gt_i64_e32 vcc, 0, v[8:9]
	v_not_b32_e32 v3, v9
	v_ashrrev_i32_e32 v3, 31, v3
	v_and_b32_e32 v1, exec_lo, v1
	v_xor_b32_e32 v9, vcc_hi, v3
	v_xor_b32_e32 v3, vcc_lo, v3
	v_and_b32_e32 v0, exec_hi, v0
	v_and_b32_e32 v1, v1, v3
	v_mov_b32_e32 v3, 29
	v_and_b32_e32 v0, v0, v9
	v_lshlrev_b32_sdwa v9, v3, v17 dst_sel:DWORD dst_unused:UNUSED_PAD src0_sel:DWORD src1_sel:WORD_1
	v_cmp_gt_i64_e32 vcc, 0, v[8:9]
	v_not_b32_e32 v3, v9
	v_ashrrev_i32_e32 v3, 31, v3
	v_xor_b32_e32 v9, vcc_hi, v3
	v_xor_b32_e32 v3, vcc_lo, v3
	v_and_b32_e32 v1, v1, v3
	v_mov_b32_e32 v3, 28
	v_and_b32_e32 v0, v0, v9
	v_lshlrev_b32_sdwa v9, v3, v17 dst_sel:DWORD dst_unused:UNUSED_PAD src0_sel:DWORD src1_sel:WORD_1
	v_cmp_gt_i64_e32 vcc, 0, v[8:9]
	v_not_b32_e32 v3, v9
	v_ashrrev_i32_e32 v3, 31, v3
	v_xor_b32_e32 v9, vcc_hi, v3
	v_xor_b32_e32 v3, vcc_lo, v3
	;; [unrolled: 9-line block ×6, first 2 shown]
	v_and_b32_e32 v1, v0, v8
	v_and_b32_e32 v0, v3, v9
	v_mbcnt_lo_u32_b32 v3, v0, 0
	v_mbcnt_hi_u32_b32 v9, v1, v3
	v_cmp_ne_u64_e32 vcc, 0, v[0:1]
	v_cmp_eq_u32_e64 s[24:25], 0, v9
	s_and_b64 s[26:27], vcc, s[24:25]
	v_add_u32_e32 v19, v15, v2
	s_waitcnt lgkmcnt(0)
	s_barrier
	; wave barrier
	s_and_saveexec_b64 s[24:25], s[26:27]
; %bb.33:
	v_bcnt_u32_b32 v0, v0, 0
	v_bcnt_u32_b32 v0, v1, v0
	ds_write_b32 v19, v0 offset:8
; %bb.34:
	s_or_b64 exec, exec, s[24:25]
	; wave barrier
	s_waitcnt lgkmcnt(0)
	s_barrier
	ds_read2_b64 v[0:3], v10 offset0:1 offset1:2
	s_waitcnt lgkmcnt(0)
	v_add_u32_e32 v8, v1, v0
	v_add3_u32 v3, v8, v2, v3
	s_nop 1
	v_mov_b32_dpp v8, v3 row_shr:1 row_mask:0xf bank_mask:0xf
	v_cndmask_b32_e64 v8, v8, 0, s[22:23]
	v_add_u32_e32 v3, v8, v3
	s_nop 1
	v_mov_b32_dpp v8, v3 row_shr:2 row_mask:0xf bank_mask:0xf
	v_cndmask_b32_e64 v8, 0, v8, s[20:21]
	v_add_u32_e32 v3, v3, v8
	;; [unrolled: 4-line block ×4, first 2 shown]
	s_nop 1
	v_mov_b32_dpp v8, v3 row_bcast:15 row_mask:0xf bank_mask:0xf
	v_cndmask_b32_e64 v8, v8, 0, s[14:15]
	v_add_u32_e32 v3, v3, v8
	s_nop 1
	v_mov_b32_dpp v8, v3 row_bcast:31 row_mask:0xf bank_mask:0xf
	v_cndmask_b32_e64 v8, 0, v8, s[10:11]
	v_add_u32_e32 v3, v3, v8
	s_and_saveexec_b64 s[24:25], s[12:13]
; %bb.35:
	ds_write_b32 v14, v3
; %bb.36:
	s_or_b64 exec, exec, s[24:25]
	s_waitcnt lgkmcnt(0)
	s_barrier
	s_and_saveexec_b64 s[24:25], s[6:7]
	s_cbranch_execz .LBB52_38
; %bb.37:
	v_add_u32_e32 v8, v10, v11
	ds_read_b32 v20, v8
	s_waitcnt lgkmcnt(0)
	s_nop 0
	v_mov_b32_dpp v21, v20 row_shr:1 row_mask:0xf bank_mask:0xf
	v_cndmask_b32_e64 v21, v21, 0, s[8:9]
	v_add_u32_e32 v20, v21, v20
	ds_write_b32 v8, v20
.LBB52_38:
	s_or_b64 exec, exec, s[24:25]
	v_mov_b32_e32 v8, 0
	v_mov_b32_e32 v20, 0
	s_waitcnt lgkmcnt(0)
	s_barrier
	s_and_saveexec_b64 s[24:25], s[2:3]
; %bb.39:
	ds_read_b32 v20, v13
; %bb.40:
	s_or_b64 exec, exec, s[24:25]
	s_waitcnt lgkmcnt(0)
	v_add_u32_e32 v3, v20, v3
	ds_bpermute_b32 v3, v12, v3
	s_mov_b32 s24, 0
	s_mov_b32 s26, s24
	;; [unrolled: 1-line block ×4, first 2 shown]
	s_waitcnt lgkmcnt(0)
	v_cndmask_b32_e64 v3, v3, v20, s[4:5]
	v_cndmask_b32_e64 v20, v3, 0, s[0:1]
	v_add_u32_e32 v21, v20, v0
	v_add_u32_e32 v0, v21, v1
	;; [unrolled: 1-line block ×3, first 2 shown]
	ds_write2_b64 v10, v[20:21], v[0:1] offset0:1 offset1:2
	s_waitcnt lgkmcnt(0)
	s_barrier
	ds_read_b32 v0, v19 offset:8
	v_lshlrev_b32_e32 v1, 2, v9
	s_waitcnt lgkmcnt(0)
	s_barrier
	v_lshl_add_u32 v0, v0, 2, v1
	ds_write_b32 v0, v17
	s_waitcnt lgkmcnt(0)
	s_barrier
	ds_read_b32 v17, v16
	s_waitcnt lgkmcnt(0)
	s_barrier
	ds_write_b32 v0, v18
	v_mov_b32_e32 v0, s24
	v_mov_b32_e32 v2, s26
	;; [unrolled: 1-line block ×4, first 2 shown]
	s_waitcnt lgkmcnt(0)
	s_barrier
	ds_read_b32 v16, v16
	s_waitcnt lgkmcnt(0)
	s_barrier
	ds_write2_b64 v10, v[0:1], v[2:3] offset0:1 offset1:2
	v_mov_b32_e32 v0, 3
	v_lshlrev_b32_sdwa v2, v0, v17 dst_sel:DWORD dst_unused:UNUSED_PAD src0_sel:DWORD src1_sel:BYTE_3
	v_mov_b32_e32 v0, 1
	v_and_b32_sdwa v0, v17, v0 dst_sel:DWORD dst_unused:UNUSED_PAD src0_sel:BYTE_3 src1_sel:DWORD
	v_add_co_u32_e32 v1, vcc, -1, v0
	v_addc_co_u32_e64 v3, s[24:25], 0, -1, vcc
	v_cmp_ne_u32_e32 vcc, 0, v0
	v_xor_b32_e32 v0, vcc_hi, v3
	v_mov_b32_e32 v3, 30
	v_lshlrev_b32_sdwa v9, v3, v17 dst_sel:DWORD dst_unused:UNUSED_PAD src0_sel:DWORD src1_sel:BYTE_3
	v_xor_b32_e32 v1, vcc_lo, v1
	v_cmp_gt_i64_e32 vcc, 0, v[8:9]
	v_not_b32_e32 v3, v9
	v_ashrrev_i32_e32 v3, 31, v3
	v_and_b32_e32 v1, exec_lo, v1
	v_xor_b32_e32 v9, vcc_hi, v3
	v_xor_b32_e32 v3, vcc_lo, v3
	v_and_b32_e32 v0, exec_hi, v0
	v_and_b32_e32 v1, v1, v3
	v_mov_b32_e32 v3, 29
	v_and_b32_e32 v0, v0, v9
	v_lshlrev_b32_sdwa v9, v3, v17 dst_sel:DWORD dst_unused:UNUSED_PAD src0_sel:DWORD src1_sel:BYTE_3
	v_cmp_gt_i64_e32 vcc, 0, v[8:9]
	v_not_b32_e32 v3, v9
	v_ashrrev_i32_e32 v3, 31, v3
	v_xor_b32_e32 v9, vcc_hi, v3
	v_xor_b32_e32 v3, vcc_lo, v3
	v_and_b32_e32 v1, v1, v3
	v_mov_b32_e32 v3, 28
	v_and_b32_e32 v0, v0, v9
	v_lshlrev_b32_sdwa v9, v3, v17 dst_sel:DWORD dst_unused:UNUSED_PAD src0_sel:DWORD src1_sel:BYTE_3
	v_cmp_gt_i64_e32 vcc, 0, v[8:9]
	v_not_b32_e32 v3, v9
	v_ashrrev_i32_e32 v3, 31, v3
	v_xor_b32_e32 v9, vcc_hi, v3
	v_xor_b32_e32 v3, vcc_lo, v3
	;; [unrolled: 9-line block ×6, first 2 shown]
	v_and_b32_e32 v1, v0, v8
	v_and_b32_e32 v0, v3, v9
	v_mbcnt_lo_u32_b32 v3, v0, 0
	v_mbcnt_hi_u32_b32 v8, v1, v3
	v_cmp_ne_u64_e32 vcc, 0, v[0:1]
	v_cmp_eq_u32_e64 s[24:25], 0, v8
	s_and_b64 s[26:27], vcc, s[24:25]
	v_add_u32_e32 v9, v15, v2
	s_waitcnt lgkmcnt(0)
	s_barrier
	; wave barrier
	s_and_saveexec_b64 s[24:25], s[26:27]
; %bb.41:
	v_bcnt_u32_b32 v0, v0, 0
	v_bcnt_u32_b32 v0, v1, v0
	ds_write_b32 v9, v0 offset:8
; %bb.42:
	s_or_b64 exec, exec, s[24:25]
	; wave barrier
	s_waitcnt lgkmcnt(0)
	s_barrier
	ds_read2_b64 v[0:3], v10 offset0:1 offset1:2
	s_waitcnt lgkmcnt(0)
	v_add_u32_e32 v15, v1, v0
	v_add3_u32 v3, v15, v2, v3
	s_nop 1
	v_mov_b32_dpp v15, v3 row_shr:1 row_mask:0xf bank_mask:0xf
	v_cndmask_b32_e64 v15, v15, 0, s[22:23]
	v_add_u32_e32 v3, v15, v3
	s_nop 1
	v_mov_b32_dpp v15, v3 row_shr:2 row_mask:0xf bank_mask:0xf
	v_cndmask_b32_e64 v15, 0, v15, s[20:21]
	v_add_u32_e32 v3, v3, v15
	;; [unrolled: 4-line block ×4, first 2 shown]
	s_nop 1
	v_mov_b32_dpp v15, v3 row_bcast:15 row_mask:0xf bank_mask:0xf
	v_cndmask_b32_e64 v15, v15, 0, s[14:15]
	v_add_u32_e32 v3, v3, v15
	s_nop 1
	v_mov_b32_dpp v15, v3 row_bcast:31 row_mask:0xf bank_mask:0xf
	v_cndmask_b32_e64 v15, 0, v15, s[10:11]
	v_add_u32_e32 v3, v3, v15
	s_and_saveexec_b64 s[10:11], s[12:13]
; %bb.43:
	ds_write_b32 v14, v3
; %bb.44:
	s_or_b64 exec, exec, s[10:11]
	s_waitcnt lgkmcnt(0)
	s_barrier
	s_and_saveexec_b64 s[10:11], s[6:7]
	s_cbranch_execz .LBB52_46
; %bb.45:
	v_add_u32_e32 v14, v10, v11
	ds_read_b32 v15, v14
	s_waitcnt lgkmcnt(0)
	s_nop 0
	v_mov_b32_dpp v18, v15 row_shr:1 row_mask:0xf bank_mask:0xf
	v_cndmask_b32_e64 v18, v18, 0, s[8:9]
	v_add_u32_e32 v15, v18, v15
	ds_write_b32 v14, v15
.LBB52_46:
	s_or_b64 exec, exec, s[10:11]
	v_mov_b32_e32 v14, 0
	s_waitcnt lgkmcnt(0)
	s_barrier
	s_and_saveexec_b64 s[6:7], s[2:3]
; %bb.47:
	ds_read_b32 v14, v13
; %bb.48:
	s_or_b64 exec, exec, s[6:7]
	s_waitcnt lgkmcnt(0)
	v_add_u32_e32 v3, v14, v3
	ds_bpermute_b32 v3, v12, v3
	s_waitcnt lgkmcnt(0)
	v_cndmask_b32_e64 v3, v3, v14, s[4:5]
	v_cndmask_b32_e64 v12, v3, 0, s[0:1]
	v_add_u32_e32 v13, v12, v0
	v_add_u32_e32 v0, v13, v1
	;; [unrolled: 1-line block ×3, first 2 shown]
	ds_write2_b64 v10, v[12:13], v[0:1] offset0:1 offset1:2
	s_waitcnt lgkmcnt(0)
	s_barrier
	ds_read_b32 v0, v9 offset:8
	v_lshlrev_b32_e32 v1, 2, v8
	s_waitcnt lgkmcnt(0)
	s_barrier
	v_lshl_add_u32 v0, v0, 2, v1
	v_add_u32_e32 v1, v10, v11
	ds_write_b32 v0, v17
	s_waitcnt lgkmcnt(0)
	s_barrier
	ds_read_b32 v1, v1
	s_waitcnt lgkmcnt(0)
	s_barrier
	ds_write_b32 v0, v16
	s_waitcnt lgkmcnt(0)
	s_barrier
.LBB52_49:
	v_add_u32_e32 v0, v10, v11
	ds_read_b32 v0, v0
	v_xor_b32_e32 v1, 0x80000000, v1
	global_store_dword v[4:5], v1, off
	s_waitcnt lgkmcnt(0)
	global_store_dword v[6:7], v0, off
	s_endpgm
	.section	.rodata,"a",@progbits
	.p2align	6, 0x0
	.amdhsa_kernel _Z21sort_key_value_kernelILj128ELj1ELb0ELb0EiiEvPT3_PT4_jj
		.amdhsa_group_segment_fixed_size 2064
		.amdhsa_private_segment_fixed_size 0
		.amdhsa_kernarg_size 280
		.amdhsa_user_sgpr_count 6
		.amdhsa_user_sgpr_private_segment_buffer 1
		.amdhsa_user_sgpr_dispatch_ptr 0
		.amdhsa_user_sgpr_queue_ptr 0
		.amdhsa_user_sgpr_kernarg_segment_ptr 1
		.amdhsa_user_sgpr_dispatch_id 0
		.amdhsa_user_sgpr_flat_scratch_init 0
		.amdhsa_user_sgpr_private_segment_size 0
		.amdhsa_uses_dynamic_stack 0
		.amdhsa_system_sgpr_private_segment_wavefront_offset 0
		.amdhsa_system_sgpr_workgroup_id_x 1
		.amdhsa_system_sgpr_workgroup_id_y 0
		.amdhsa_system_sgpr_workgroup_id_z 0
		.amdhsa_system_sgpr_workgroup_info 0
		.amdhsa_system_vgpr_workitem_id 2
		.amdhsa_next_free_vgpr 30
		.amdhsa_next_free_sgpr 61
		.amdhsa_reserve_vcc 1
		.amdhsa_reserve_flat_scratch 0
		.amdhsa_float_round_mode_32 0
		.amdhsa_float_round_mode_16_64 0
		.amdhsa_float_denorm_mode_32 3
		.amdhsa_float_denorm_mode_16_64 3
		.amdhsa_dx10_clamp 1
		.amdhsa_ieee_mode 1
		.amdhsa_fp16_overflow 0
		.amdhsa_exception_fp_ieee_invalid_op 0
		.amdhsa_exception_fp_denorm_src 0
		.amdhsa_exception_fp_ieee_div_zero 0
		.amdhsa_exception_fp_ieee_overflow 0
		.amdhsa_exception_fp_ieee_underflow 0
		.amdhsa_exception_fp_ieee_inexact 0
		.amdhsa_exception_int_div_zero 0
	.end_amdhsa_kernel
	.section	.text._Z21sort_key_value_kernelILj128ELj1ELb0ELb0EiiEvPT3_PT4_jj,"axG",@progbits,_Z21sort_key_value_kernelILj128ELj1ELb0ELb0EiiEvPT3_PT4_jj,comdat
.Lfunc_end52:
	.size	_Z21sort_key_value_kernelILj128ELj1ELb0ELb0EiiEvPT3_PT4_jj, .Lfunc_end52-_Z21sort_key_value_kernelILj128ELj1ELb0ELb0EiiEvPT3_PT4_jj
                                        ; -- End function
	.set _Z21sort_key_value_kernelILj128ELj1ELb0ELb0EiiEvPT3_PT4_jj.num_vgpr, 30
	.set _Z21sort_key_value_kernelILj128ELj1ELb0ELb0EiiEvPT3_PT4_jj.num_agpr, 0
	.set _Z21sort_key_value_kernelILj128ELj1ELb0ELb0EiiEvPT3_PT4_jj.numbered_sgpr, 38
	.set _Z21sort_key_value_kernelILj128ELj1ELb0ELb0EiiEvPT3_PT4_jj.num_named_barrier, 0
	.set _Z21sort_key_value_kernelILj128ELj1ELb0ELb0EiiEvPT3_PT4_jj.private_seg_size, 0
	.set _Z21sort_key_value_kernelILj128ELj1ELb0ELb0EiiEvPT3_PT4_jj.uses_vcc, 1
	.set _Z21sort_key_value_kernelILj128ELj1ELb0ELb0EiiEvPT3_PT4_jj.uses_flat_scratch, 0
	.set _Z21sort_key_value_kernelILj128ELj1ELb0ELb0EiiEvPT3_PT4_jj.has_dyn_sized_stack, 0
	.set _Z21sort_key_value_kernelILj128ELj1ELb0ELb0EiiEvPT3_PT4_jj.has_recursion, 0
	.set _Z21sort_key_value_kernelILj128ELj1ELb0ELb0EiiEvPT3_PT4_jj.has_indirect_call, 0
	.section	.AMDGPU.csdata,"",@progbits
; Kernel info:
; codeLenInByte = 4860
; TotalNumSgprs: 42
; NumVgprs: 30
; ScratchSize: 0
; MemoryBound: 0
; FloatMode: 240
; IeeeMode: 1
; LDSByteSize: 2064 bytes/workgroup (compile time only)
; SGPRBlocks: 8
; VGPRBlocks: 7
; NumSGPRsForWavesPerEU: 65
; NumVGPRsForWavesPerEU: 30
; Occupancy: 8
; WaveLimiterHint : 0
; COMPUTE_PGM_RSRC2:SCRATCH_EN: 0
; COMPUTE_PGM_RSRC2:USER_SGPR: 6
; COMPUTE_PGM_RSRC2:TRAP_HANDLER: 0
; COMPUTE_PGM_RSRC2:TGID_X_EN: 1
; COMPUTE_PGM_RSRC2:TGID_Y_EN: 0
; COMPUTE_PGM_RSRC2:TGID_Z_EN: 0
; COMPUTE_PGM_RSRC2:TIDIG_COMP_CNT: 2
	.section	.text._Z21sort_key_value_kernelILj64ELj1ELb0ELb0EjiEvPT3_PT4_jj,"axG",@progbits,_Z21sort_key_value_kernelILj64ELj1ELb0ELb0EjiEvPT3_PT4_jj,comdat
	.protected	_Z21sort_key_value_kernelILj64ELj1ELb0ELb0EjiEvPT3_PT4_jj ; -- Begin function _Z21sort_key_value_kernelILj64ELj1ELb0ELb0EjiEvPT3_PT4_jj
	.globl	_Z21sort_key_value_kernelILj64ELj1ELb0ELb0EjiEvPT3_PT4_jj
	.p2align	8
	.type	_Z21sort_key_value_kernelILj64ELj1ELb0ELb0EjiEvPT3_PT4_jj,@function
_Z21sort_key_value_kernelILj64ELj1ELb0ELb0EjiEvPT3_PT4_jj: ; @_Z21sort_key_value_kernelILj64ELj1ELb0ELb0EjiEvPT3_PT4_jj
; %bb.0:
	s_load_dwordx4 s[0:3], s[4:5], 0x0
	s_load_dwordx2 s[22:23], s[4:5], 0x10
	s_lshl_b32 s6, s6, 6
	s_mov_b32 s7, 0
	s_lshl_b64 s[6:7], s[6:7], 2
	s_waitcnt lgkmcnt(0)
	s_add_u32 s18, s0, s6
	s_addc_u32 s19, s1, s7
	v_lshlrev_b32_e32 v8, 2, v0
	s_add_u32 s20, s2, s6
	s_addc_u32 s21, s3, s7
	global_load_dword v14, v8, s[18:19]
	global_load_dword v13, v8, s[20:21]
	s_load_dword s4, s[4:5], 0x24
	s_cmp_eq_u32 s22, 0
	s_cselect_b64 s[0:1], -1, 0
	s_cmp_eq_u32 s23, 32
	s_cselect_b64 s[2:3], -1, 0
	s_and_b64 s[24:25], s[0:1], s[2:3]
	s_waitcnt lgkmcnt(0)
	s_lshr_b32 s0, s4, 16
	v_mad_u32_u24 v1, v2, s0, v1
	v_mbcnt_lo_u32_b32 v2, -1, 0
	v_mbcnt_hi_u32_b32 v2, -1, v2
	v_and_b32_e32 v4, 15, v2
	v_cmp_eq_u32_e64 s[12:13], 0, v4
	v_cmp_lt_u32_e64 s[10:11], 1, v4
	v_cmp_lt_u32_e64 s[8:9], 3, v4
	;; [unrolled: 1-line block ×3, first 2 shown]
	v_and_b32_e32 v4, 16, v2
	s_and_b32 s1, s4, 0xffff
	v_cmp_eq_u32_e64 s[4:5], 0, v4
	v_subrev_co_u32_e32 v4, vcc, 1, v2
	v_and_b32_e32 v5, 64, v2
	v_mad_u32_u24 v1, v1, s1, v0
	v_cmp_lt_i32_e64 s[14:15], v4, v5
	v_cndmask_b32_e64 v4, v4, v2, s[14:15]
	v_cmp_eq_u32_e64 s[14:15], 0, v0
	v_lshrrev_b32_e32 v1, 4, v1
	v_mov_b32_e32 v3, 0
	v_mov_b32_e32 v7, s19
	;; [unrolled: 1-line block ×3, first 2 shown]
	v_lshlrev_b32_e32 v9, 4, v0
	v_cmp_lt_u32_e64 s[2:3], 31, v2
	v_cmp_eq_u32_e64 s[0:1], 63, v0
	v_lshlrev_b32_e32 v10, 2, v4
	s_or_b64 s[16:17], s[14:15], vcc
	v_lshlrev_b32_e32 v12, 2, v2
	v_and_b32_e32 v11, 0xffffffc, v1
	s_and_b64 vcc, exec, s[24:25]
	s_cbranch_vccnz .LBB53_9
; %bb.1:
	s_sub_i32 s14, s23, s22
	v_mov_b32_e32 v16, s14
	s_waitcnt vmcnt(0)
	v_mov_b32_e32 v4, v13
	v_mov_b32_e32 v2, v14
	s_branch .LBB53_3
.LBB53_2:                               ;   in Loop: Header=BB53_3 Depth=1
	s_andn2_b64 vcc, exec, s[14:15]
	s_cbranch_vccz .LBB53_10
.LBB53_3:                               ; =>This Inner Loop Header: Depth=1
	v_mov_b32_e32 v17, v2
	v_min_u32_e32 v1, 8, v16
	v_lshrrev_b32_e32 v2, s22, v17
	v_bfe_u32 v1, v2, 0, v1
	v_and_b32_e32 v2, 1, v1
	v_mov_b32_e32 v15, v4
	v_add_co_u32_e32 v4, vcc, -1, v2
	v_addc_co_u32_e64 v5, s[14:15], 0, -1, vcc
	v_cmp_ne_u32_e32 vcc, 0, v2
	v_xor_b32_e32 v4, vcc_lo, v4
	v_xor_b32_e32 v2, vcc_hi, v5
	v_and_b32_e32 v5, exec_lo, v4
	v_lshlrev_b32_e32 v4, 30, v1
	v_cmp_gt_i64_e32 vcc, 0, v[3:4]
	v_not_b32_e32 v4, v4
	v_ashrrev_i32_e32 v4, 31, v4
	v_xor_b32_e32 v19, vcc_hi, v4
	v_xor_b32_e32 v4, vcc_lo, v4
	v_and_b32_e32 v5, v5, v4
	v_lshlrev_b32_e32 v4, 29, v1
	v_cmp_gt_i64_e32 vcc, 0, v[3:4]
	v_not_b32_e32 v4, v4
	v_and_b32_e32 v2, exec_hi, v2
	v_ashrrev_i32_e32 v4, 31, v4
	v_and_b32_e32 v2, v2, v19
	v_xor_b32_e32 v19, vcc_hi, v4
	v_xor_b32_e32 v4, vcc_lo, v4
	v_and_b32_e32 v5, v5, v4
	v_lshlrev_b32_e32 v4, 28, v1
	v_cmp_gt_i64_e32 vcc, 0, v[3:4]
	v_not_b32_e32 v4, v4
	v_ashrrev_i32_e32 v4, 31, v4
	v_and_b32_e32 v2, v2, v19
	v_xor_b32_e32 v19, vcc_hi, v4
	v_xor_b32_e32 v4, vcc_lo, v4
	v_and_b32_e32 v5, v5, v4
	v_lshlrev_b32_e32 v4, 27, v1
	v_cmp_gt_i64_e32 vcc, 0, v[3:4]
	v_not_b32_e32 v4, v4
	;; [unrolled: 8-line block ×4, first 2 shown]
	v_ashrrev_i32_e32 v4, 31, v4
	v_and_b32_e32 v2, v2, v19
	v_xor_b32_e32 v19, vcc_hi, v4
	v_xor_b32_e32 v4, vcc_lo, v4
	v_and_b32_e32 v5, v5, v4
	v_lshlrev_b32_e32 v4, 24, v1
	v_lshl_add_u32 v18, v1, 2, v11
	v_cmp_gt_i64_e32 vcc, 0, v[3:4]
	v_not_b32_e32 v1, v4
	v_ashrrev_i32_e32 v1, 31, v1
	v_xor_b32_e32 v4, vcc_hi, v1
	v_xor_b32_e32 v1, vcc_lo, v1
	v_and_b32_e32 v2, v2, v19
	v_and_b32_e32 v1, v5, v1
	;; [unrolled: 1-line block ×3, first 2 shown]
	v_mbcnt_lo_u32_b32 v4, v1, 0
	v_mbcnt_hi_u32_b32 v19, v2, v4
	v_cmp_ne_u64_e32 vcc, 0, v[1:2]
	v_cmp_eq_u32_e64 s[14:15], 0, v19
	s_and_b64 s[24:25], vcc, s[14:15]
	ds_write2_b32 v9, v3, v3 offset0:1 offset1:2
	ds_write2_b32 v9, v3, v3 offset0:3 offset1:4
	s_waitcnt lgkmcnt(0)
	; wave barrier
	; wave barrier
	s_and_saveexec_b64 s[14:15], s[24:25]
; %bb.4:                                ;   in Loop: Header=BB53_3 Depth=1
	v_bcnt_u32_b32 v1, v1, 0
	v_bcnt_u32_b32 v1, v2, v1
	ds_write_b32 v18, v1 offset:4
; %bb.5:                                ;   in Loop: Header=BB53_3 Depth=1
	s_or_b64 exec, exec, s[14:15]
	; wave barrier
	s_waitcnt lgkmcnt(0)
	; wave barrier
	ds_read2_b32 v[4:5], v9 offset0:1 offset1:2
	ds_read2_b32 v[1:2], v9 offset0:3 offset1:4
	s_waitcnt lgkmcnt(1)
	v_add_u32_e32 v20, v5, v4
	s_waitcnt lgkmcnt(0)
	v_add3_u32 v2, v20, v1, v2
	s_nop 1
	v_mov_b32_dpp v20, v2 row_shr:1 row_mask:0xf bank_mask:0xf
	v_cndmask_b32_e64 v20, v20, 0, s[12:13]
	v_add_u32_e32 v2, v20, v2
	s_nop 1
	v_mov_b32_dpp v20, v2 row_shr:2 row_mask:0xf bank_mask:0xf
	v_cndmask_b32_e64 v20, 0, v20, s[10:11]
	v_add_u32_e32 v2, v2, v20
	;; [unrolled: 4-line block ×4, first 2 shown]
	s_nop 1
	v_mov_b32_dpp v20, v2 row_bcast:15 row_mask:0xf bank_mask:0xf
	v_cndmask_b32_e64 v20, v20, 0, s[4:5]
	v_add_u32_e32 v2, v2, v20
	s_nop 1
	v_mov_b32_dpp v20, v2 row_bcast:31 row_mask:0xf bank_mask:0xf
	v_cndmask_b32_e64 v20, 0, v20, s[2:3]
	v_add_u32_e32 v2, v2, v20
	s_and_saveexec_b64 s[14:15], s[0:1]
; %bb.6:                                ;   in Loop: Header=BB53_3 Depth=1
	ds_write_b32 v3, v2
; %bb.7:                                ;   in Loop: Header=BB53_3 Depth=1
	s_or_b64 exec, exec, s[14:15]
	ds_bpermute_b32 v2, v10, v2
	s_waitcnt lgkmcnt(0)
	; wave barrier
	s_add_i32 s22, s22, 8
	s_cmp_ge_u32 s22, s23
	v_cndmask_b32_e64 v2, v2, 0, s[16:17]
	v_add_u32_e32 v4, v2, v4
	v_add_u32_e32 v5, v4, v5
	;; [unrolled: 1-line block ×3, first 2 shown]
	ds_write2_b32 v9, v2, v4 offset0:1 offset1:2
	ds_write2_b32 v9, v5, v1 offset0:3 offset1:4
	s_waitcnt lgkmcnt(0)
	; wave barrier
	ds_read_b32 v1, v18 offset:4
	v_lshlrev_b32_e32 v2, 2, v19
	s_mov_b64 s[14:15], -1
	s_waitcnt lgkmcnt(0)
                                        ; implicit-def: $vgpr4
	v_lshl_add_u32 v1, v1, 2, v2
                                        ; implicit-def: $vgpr2
	s_cbranch_scc1 .LBB53_2
; %bb.8:                                ;   in Loop: Header=BB53_3 Depth=1
	; wave barrier
	ds_write_b32 v1, v17
	s_waitcnt lgkmcnt(0)
	; wave barrier
	ds_read_b32 v2, v12
	s_waitcnt lgkmcnt(0)
	; wave barrier
	ds_write_b32 v1, v15
	s_waitcnt lgkmcnt(0)
	; wave barrier
	ds_read_b32 v4, v12
	v_add_u32_e32 v16, -8, v16
	s_mov_b64 s[14:15], 0
	s_waitcnt lgkmcnt(0)
	; wave barrier
	s_branch .LBB53_2
.LBB53_9:
	s_mov_b64 s[14:15], -1
                                        ; implicit-def: $vgpr5
                                        ; implicit-def: $vgpr4
	s_branch .LBB53_11
.LBB53_10:
	v_lshlrev_b32_e32 v5, 2, v0
	; wave barrier
	ds_write_b32 v1, v17
	s_waitcnt lgkmcnt(0)
	; wave barrier
	ds_read_b32 v4, v5
	s_mov_b64 s[14:15], 0
	s_waitcnt lgkmcnt(0)
	; wave barrier
	ds_write_b32 v1, v15
	s_waitcnt lgkmcnt(0)
	; wave barrier
.LBB53_11:
	v_add_co_u32_e32 v0, vcc, s18, v8
	v_addc_co_u32_e32 v1, vcc, 0, v7, vcc
	v_add_co_u32_e32 v2, vcc, s20, v8
	v_addc_co_u32_e32 v3, vcc, 0, v6, vcc
	s_and_b64 vcc, exec, s[14:15]
	s_cbranch_vccz .LBB53_29
; %bb.12:
	s_waitcnt vmcnt(1)
	v_and_b32_e32 v5, 0xff, v14
	v_lshl_add_u32 v15, v5, 2, v11
	v_and_b32_e32 v5, 1, v14
	v_add_co_u32_e32 v6, vcc, -1, v5
	v_addc_co_u32_e64 v7, s[14:15], 0, -1, vcc
	v_cmp_ne_u32_e32 vcc, 0, v5
	v_xor_b32_e32 v5, vcc_hi, v7
	v_mov_b32_e32 v4, 0
	v_and_b32_e32 v7, exec_hi, v5
	v_lshlrev_b32_e32 v5, 30, v14
	v_xor_b32_e32 v6, vcc_lo, v6
	v_cmp_gt_i64_e32 vcc, 0, v[4:5]
	v_not_b32_e32 v5, v5
	v_ashrrev_i32_e32 v5, 31, v5
	v_and_b32_e32 v6, exec_lo, v6
	v_xor_b32_e32 v16, vcc_hi, v5
	v_xor_b32_e32 v5, vcc_lo, v5
	v_and_b32_e32 v6, v6, v5
	v_lshlrev_b32_e32 v5, 29, v14
	v_cmp_gt_i64_e32 vcc, 0, v[4:5]
	v_not_b32_e32 v5, v5
	v_ashrrev_i32_e32 v5, 31, v5
	v_and_b32_e32 v7, v7, v16
	v_xor_b32_e32 v16, vcc_hi, v5
	v_xor_b32_e32 v5, vcc_lo, v5
	v_and_b32_e32 v6, v6, v5
	v_lshlrev_b32_e32 v5, 28, v14
	v_cmp_gt_i64_e32 vcc, 0, v[4:5]
	v_not_b32_e32 v5, v5
	v_ashrrev_i32_e32 v5, 31, v5
	v_and_b32_e32 v7, v7, v16
	;; [unrolled: 8-line block ×5, first 2 shown]
	v_xor_b32_e32 v16, vcc_hi, v5
	v_xor_b32_e32 v5, vcc_lo, v5
	v_and_b32_e32 v6, v6, v5
	v_lshlrev_b32_e32 v5, 24, v14
	ds_write2_b32 v9, v4, v4 offset0:1 offset1:2
	ds_write2_b32 v9, v4, v4 offset0:3 offset1:4
	v_cmp_gt_i64_e32 vcc, 0, v[4:5]
	v_not_b32_e32 v4, v5
	v_ashrrev_i32_e32 v4, 31, v4
	v_xor_b32_e32 v5, vcc_hi, v4
	v_xor_b32_e32 v4, vcc_lo, v4
	v_and_b32_e32 v7, v7, v16
	v_and_b32_e32 v4, v6, v4
	;; [unrolled: 1-line block ×3, first 2 shown]
	v_mbcnt_lo_u32_b32 v6, v4, 0
	v_mbcnt_hi_u32_b32 v16, v5, v6
	v_cmp_ne_u64_e32 vcc, 0, v[4:5]
	v_cmp_eq_u32_e64 s[14:15], 0, v16
	s_and_b64 s[18:19], vcc, s[14:15]
	s_waitcnt lgkmcnt(0)
	; wave barrier
	; wave barrier
	s_and_saveexec_b64 s[14:15], s[18:19]
; %bb.13:
	v_bcnt_u32_b32 v4, v4, 0
	v_bcnt_u32_b32 v4, v5, v4
	ds_write_b32 v15, v4 offset:4
; %bb.14:
	s_or_b64 exec, exec, s[14:15]
	; wave barrier
	s_waitcnt lgkmcnt(0)
	; wave barrier
	ds_read2_b32 v[6:7], v9 offset0:1 offset1:2
	ds_read2_b32 v[4:5], v9 offset0:3 offset1:4
	s_waitcnt lgkmcnt(1)
	v_add_u32_e32 v17, v7, v6
	s_waitcnt lgkmcnt(0)
	v_add3_u32 v5, v17, v4, v5
	s_nop 1
	v_mov_b32_dpp v17, v5 row_shr:1 row_mask:0xf bank_mask:0xf
	v_cndmask_b32_e64 v17, v17, 0, s[12:13]
	v_add_u32_e32 v5, v17, v5
	s_nop 1
	v_mov_b32_dpp v17, v5 row_shr:2 row_mask:0xf bank_mask:0xf
	v_cndmask_b32_e64 v17, 0, v17, s[10:11]
	v_add_u32_e32 v5, v5, v17
	;; [unrolled: 4-line block ×4, first 2 shown]
	s_nop 1
	v_mov_b32_dpp v17, v5 row_bcast:15 row_mask:0xf bank_mask:0xf
	v_cndmask_b32_e64 v17, v17, 0, s[4:5]
	v_add_u32_e32 v5, v5, v17
	s_nop 1
	v_mov_b32_dpp v17, v5 row_bcast:31 row_mask:0xf bank_mask:0xf
	v_cndmask_b32_e64 v17, 0, v17, s[2:3]
	v_add_u32_e32 v5, v5, v17
	s_and_saveexec_b64 s[14:15], s[0:1]
; %bb.15:
	v_mov_b32_e32 v17, 0
	ds_write_b32 v17, v5
; %bb.16:
	s_or_b64 exec, exec, s[14:15]
	ds_bpermute_b32 v5, v10, v5
	s_waitcnt lgkmcnt(0)
	; wave barrier
	v_cndmask_b32_e64 v5, v5, 0, s[16:17]
	v_add_u32_e32 v6, v5, v6
	v_add_u32_e32 v7, v6, v7
	;; [unrolled: 1-line block ×3, first 2 shown]
	ds_write2_b32 v9, v5, v6 offset0:1 offset1:2
	ds_write2_b32 v9, v7, v4 offset0:3 offset1:4
	s_waitcnt lgkmcnt(0)
	; wave barrier
	ds_read_b32 v4, v15 offset:4
	v_lshlrev_b32_e32 v5, 2, v16
	s_waitcnt lgkmcnt(0)
	; wave barrier
	v_lshl_add_u32 v4, v4, 2, v5
	ds_write_b32 v4, v14
	s_waitcnt lgkmcnt(0)
	; wave barrier
	ds_read_b32 v14, v12
	s_waitcnt vmcnt(0) lgkmcnt(0)
	; wave barrier
	ds_write_b32 v4, v13
	v_mov_b32_e32 v4, 0
	v_lshrrev_b32_e32 v6, 8, v14
	v_and_b32_e32 v5, 0xff, v6
	v_lshl_add_u32 v13, v5, 2, v11
	v_and_b32_e32 v5, 1, v6
	v_add_co_u32_e32 v7, vcc, -1, v5
	v_addc_co_u32_e64 v16, s[14:15], 0, -1, vcc
	v_cmp_ne_u32_e32 vcc, 0, v5
	v_xor_b32_e32 v5, vcc_hi, v16
	v_and_b32_e32 v16, exec_hi, v5
	v_lshlrev_b32_e32 v5, 30, v6
	v_xor_b32_e32 v7, vcc_lo, v7
	v_cmp_gt_i64_e32 vcc, 0, v[4:5]
	v_not_b32_e32 v5, v5
	v_ashrrev_i32_e32 v5, 31, v5
	v_and_b32_e32 v7, exec_lo, v7
	v_xor_b32_e32 v17, vcc_hi, v5
	v_xor_b32_e32 v5, vcc_lo, v5
	v_and_b32_e32 v7, v7, v5
	v_lshlrev_b32_e32 v5, 29, v6
	v_cmp_gt_i64_e32 vcc, 0, v[4:5]
	v_not_b32_e32 v5, v5
	v_ashrrev_i32_e32 v5, 31, v5
	v_and_b32_e32 v16, v16, v17
	v_xor_b32_e32 v17, vcc_hi, v5
	v_xor_b32_e32 v5, vcc_lo, v5
	v_and_b32_e32 v7, v7, v5
	v_lshlrev_b32_e32 v5, 28, v6
	v_cmp_gt_i64_e32 vcc, 0, v[4:5]
	v_not_b32_e32 v5, v5
	v_ashrrev_i32_e32 v5, 31, v5
	v_and_b32_e32 v16, v16, v17
	;; [unrolled: 8-line block ×5, first 2 shown]
	v_xor_b32_e32 v17, vcc_hi, v5
	v_xor_b32_e32 v5, vcc_lo, v5
	v_and_b32_e32 v7, v7, v5
	v_lshlrev_b32_e32 v5, 24, v6
	s_waitcnt lgkmcnt(0)
	; wave barrier
	ds_read_b32 v15, v12
	s_waitcnt lgkmcnt(0)
	; wave barrier
	ds_write2_b32 v9, v4, v4 offset0:1 offset1:2
	ds_write2_b32 v9, v4, v4 offset0:3 offset1:4
	v_cmp_gt_i64_e32 vcc, 0, v[4:5]
	v_not_b32_e32 v4, v5
	v_ashrrev_i32_e32 v4, 31, v4
	v_xor_b32_e32 v5, vcc_hi, v4
	v_xor_b32_e32 v4, vcc_lo, v4
	v_and_b32_e32 v16, v16, v17
	v_and_b32_e32 v4, v7, v4
	v_and_b32_e32 v5, v16, v5
	v_mbcnt_lo_u32_b32 v6, v4, 0
	v_mbcnt_hi_u32_b32 v16, v5, v6
	v_cmp_ne_u64_e32 vcc, 0, v[4:5]
	v_cmp_eq_u32_e64 s[14:15], 0, v16
	s_and_b64 s[18:19], vcc, s[14:15]
	s_waitcnt lgkmcnt(0)
	; wave barrier
	; wave barrier
	s_and_saveexec_b64 s[14:15], s[18:19]
; %bb.17:
	v_bcnt_u32_b32 v4, v4, 0
	v_bcnt_u32_b32 v4, v5, v4
	ds_write_b32 v13, v4 offset:4
; %bb.18:
	s_or_b64 exec, exec, s[14:15]
	; wave barrier
	s_waitcnt lgkmcnt(0)
	; wave barrier
	ds_read2_b32 v[6:7], v9 offset0:1 offset1:2
	ds_read2_b32 v[4:5], v9 offset0:3 offset1:4
	s_waitcnt lgkmcnt(1)
	v_add_u32_e32 v17, v7, v6
	s_waitcnt lgkmcnt(0)
	v_add3_u32 v5, v17, v4, v5
	s_nop 1
	v_mov_b32_dpp v17, v5 row_shr:1 row_mask:0xf bank_mask:0xf
	v_cndmask_b32_e64 v17, v17, 0, s[12:13]
	v_add_u32_e32 v5, v17, v5
	s_nop 1
	v_mov_b32_dpp v17, v5 row_shr:2 row_mask:0xf bank_mask:0xf
	v_cndmask_b32_e64 v17, 0, v17, s[10:11]
	v_add_u32_e32 v5, v5, v17
	;; [unrolled: 4-line block ×4, first 2 shown]
	s_nop 1
	v_mov_b32_dpp v17, v5 row_bcast:15 row_mask:0xf bank_mask:0xf
	v_cndmask_b32_e64 v17, v17, 0, s[4:5]
	v_add_u32_e32 v5, v5, v17
	s_nop 1
	v_mov_b32_dpp v17, v5 row_bcast:31 row_mask:0xf bank_mask:0xf
	v_cndmask_b32_e64 v17, 0, v17, s[2:3]
	v_add_u32_e32 v5, v5, v17
	s_and_saveexec_b64 s[14:15], s[0:1]
; %bb.19:
	v_mov_b32_e32 v17, 0
	ds_write_b32 v17, v5
; %bb.20:
	s_or_b64 exec, exec, s[14:15]
	ds_bpermute_b32 v5, v10, v5
	s_waitcnt lgkmcnt(0)
	; wave barrier
	s_movk_i32 s14, 0xff
	v_cndmask_b32_e64 v5, v5, 0, s[16:17]
	v_add_u32_e32 v6, v5, v6
	v_add_u32_e32 v7, v6, v7
	;; [unrolled: 1-line block ×3, first 2 shown]
	ds_write2_b32 v9, v5, v6 offset0:1 offset1:2
	ds_write2_b32 v9, v7, v4 offset0:3 offset1:4
	s_waitcnt lgkmcnt(0)
	; wave barrier
	ds_read_b32 v4, v13 offset:4
	v_lshlrev_b32_e32 v5, 2, v16
	s_waitcnt lgkmcnt(0)
	; wave barrier
	v_lshl_add_u32 v4, v4, 2, v5
	ds_write_b32 v4, v14
	s_waitcnt lgkmcnt(0)
	; wave barrier
	ds_read_b32 v13, v12
	s_waitcnt lgkmcnt(0)
	; wave barrier
	ds_write_b32 v4, v15
	v_mov_b32_e32 v4, 0
	v_and_b32_sdwa v5, v13, s14 dst_sel:DWORD dst_unused:UNUSED_PAD src0_sel:WORD_1 src1_sel:DWORD
	v_lshl_add_u32 v15, v5, 2, v11
	v_mov_b32_e32 v5, 1
	v_and_b32_sdwa v5, v13, v5 dst_sel:DWORD dst_unused:UNUSED_PAD src0_sel:WORD_1 src1_sel:DWORD
	v_add_co_u32_e32 v6, vcc, -1, v5
	v_addc_co_u32_e64 v7, s[14:15], 0, -1, vcc
	v_cmp_ne_u32_e32 vcc, 0, v5
	v_xor_b32_e32 v5, vcc_hi, v7
	v_and_b32_e32 v7, exec_hi, v5
	v_mov_b32_e32 v5, 30
	v_lshlrev_b32_sdwa v5, v5, v13 dst_sel:DWORD dst_unused:UNUSED_PAD src0_sel:DWORD src1_sel:WORD_1
	v_xor_b32_e32 v6, vcc_lo, v6
	v_cmp_gt_i64_e32 vcc, 0, v[4:5]
	v_not_b32_e32 v5, v5
	v_ashrrev_i32_e32 v5, 31, v5
	v_and_b32_e32 v6, exec_lo, v6
	v_xor_b32_e32 v16, vcc_hi, v5
	v_xor_b32_e32 v5, vcc_lo, v5
	v_and_b32_e32 v6, v6, v5
	v_mov_b32_e32 v5, 29
	v_lshlrev_b32_sdwa v5, v5, v13 dst_sel:DWORD dst_unused:UNUSED_PAD src0_sel:DWORD src1_sel:WORD_1
	v_cmp_gt_i64_e32 vcc, 0, v[4:5]
	v_not_b32_e32 v5, v5
	v_ashrrev_i32_e32 v5, 31, v5
	v_and_b32_e32 v7, v7, v16
	v_xor_b32_e32 v16, vcc_hi, v5
	v_xor_b32_e32 v5, vcc_lo, v5
	v_and_b32_e32 v6, v6, v5
	v_mov_b32_e32 v5, 28
	v_lshlrev_b32_sdwa v5, v5, v13 dst_sel:DWORD dst_unused:UNUSED_PAD src0_sel:DWORD src1_sel:WORD_1
	v_cmp_gt_i64_e32 vcc, 0, v[4:5]
	v_not_b32_e32 v5, v5
	v_ashrrev_i32_e32 v5, 31, v5
	v_and_b32_e32 v7, v7, v16
	;; [unrolled: 9-line block ×5, first 2 shown]
	v_xor_b32_e32 v16, vcc_hi, v5
	v_xor_b32_e32 v5, vcc_lo, v5
	v_and_b32_e32 v6, v6, v5
	v_mov_b32_e32 v5, 24
	v_lshlrev_b32_sdwa v5, v5, v13 dst_sel:DWORD dst_unused:UNUSED_PAD src0_sel:DWORD src1_sel:WORD_1
	s_waitcnt lgkmcnt(0)
	; wave barrier
	ds_read_b32 v14, v12
	s_waitcnt lgkmcnt(0)
	; wave barrier
	ds_write2_b32 v9, v4, v4 offset0:1 offset1:2
	ds_write2_b32 v9, v4, v4 offset0:3 offset1:4
	v_cmp_gt_i64_e32 vcc, 0, v[4:5]
	v_not_b32_e32 v4, v5
	v_ashrrev_i32_e32 v4, 31, v4
	v_xor_b32_e32 v5, vcc_hi, v4
	v_xor_b32_e32 v4, vcc_lo, v4
	v_and_b32_e32 v7, v7, v16
	v_and_b32_e32 v4, v6, v4
	;; [unrolled: 1-line block ×3, first 2 shown]
	v_mbcnt_lo_u32_b32 v6, v4, 0
	v_mbcnt_hi_u32_b32 v16, v5, v6
	v_cmp_ne_u64_e32 vcc, 0, v[4:5]
	v_cmp_eq_u32_e64 s[14:15], 0, v16
	s_and_b64 s[18:19], vcc, s[14:15]
	s_waitcnt lgkmcnt(0)
	; wave barrier
	; wave barrier
	s_and_saveexec_b64 s[14:15], s[18:19]
; %bb.21:
	v_bcnt_u32_b32 v4, v4, 0
	v_bcnt_u32_b32 v4, v5, v4
	ds_write_b32 v15, v4 offset:4
; %bb.22:
	s_or_b64 exec, exec, s[14:15]
	; wave barrier
	s_waitcnt lgkmcnt(0)
	; wave barrier
	ds_read2_b32 v[6:7], v9 offset0:1 offset1:2
	ds_read2_b32 v[4:5], v9 offset0:3 offset1:4
	s_waitcnt lgkmcnt(1)
	v_add_u32_e32 v17, v7, v6
	s_waitcnt lgkmcnt(0)
	v_add3_u32 v5, v17, v4, v5
	s_nop 1
	v_mov_b32_dpp v17, v5 row_shr:1 row_mask:0xf bank_mask:0xf
	v_cndmask_b32_e64 v17, v17, 0, s[12:13]
	v_add_u32_e32 v5, v17, v5
	s_nop 1
	v_mov_b32_dpp v17, v5 row_shr:2 row_mask:0xf bank_mask:0xf
	v_cndmask_b32_e64 v17, 0, v17, s[10:11]
	v_add_u32_e32 v5, v5, v17
	;; [unrolled: 4-line block ×4, first 2 shown]
	s_nop 1
	v_mov_b32_dpp v17, v5 row_bcast:15 row_mask:0xf bank_mask:0xf
	v_cndmask_b32_e64 v17, v17, 0, s[4:5]
	v_add_u32_e32 v5, v5, v17
	s_nop 1
	v_mov_b32_dpp v17, v5 row_bcast:31 row_mask:0xf bank_mask:0xf
	v_cndmask_b32_e64 v17, 0, v17, s[2:3]
	v_add_u32_e32 v5, v5, v17
	s_and_saveexec_b64 s[14:15], s[0:1]
; %bb.23:
	v_mov_b32_e32 v17, 0
	ds_write_b32 v17, v5
; %bb.24:
	s_or_b64 exec, exec, s[14:15]
	ds_bpermute_b32 v5, v10, v5
	s_waitcnt lgkmcnt(0)
	; wave barrier
	v_cndmask_b32_e64 v5, v5, 0, s[16:17]
	v_add_u32_e32 v6, v5, v6
	v_add_u32_e32 v7, v6, v7
	;; [unrolled: 1-line block ×3, first 2 shown]
	ds_write2_b32 v9, v5, v6 offset0:1 offset1:2
	ds_write2_b32 v9, v7, v4 offset0:3 offset1:4
	s_waitcnt lgkmcnt(0)
	; wave barrier
	ds_read_b32 v4, v15 offset:4
	v_lshlrev_b32_e32 v5, 2, v16
	s_waitcnt lgkmcnt(0)
	; wave barrier
	v_lshl_add_u32 v4, v4, 2, v5
	ds_write_b32 v4, v13
	s_waitcnt lgkmcnt(0)
	; wave barrier
	ds_read_b32 v13, v12
	s_waitcnt lgkmcnt(0)
	; wave barrier
	ds_write_b32 v4, v14
	v_mov_b32_e32 v4, 0
	v_lshrrev_b32_e32 v6, 24, v13
	v_and_b32_e32 v5, 1, v6
	v_add_co_u32_e32 v7, vcc, -1, v5
	v_addc_co_u32_e64 v14, s[14:15], 0, -1, vcc
	v_cmp_ne_u32_e32 vcc, 0, v5
	v_xor_b32_e32 v5, vcc_hi, v14
	v_and_b32_e32 v14, exec_hi, v5
	v_lshlrev_b32_e32 v5, 30, v6
	v_xor_b32_e32 v7, vcc_lo, v7
	v_cmp_gt_i64_e32 vcc, 0, v[4:5]
	v_not_b32_e32 v5, v5
	v_ashrrev_i32_e32 v5, 31, v5
	v_and_b32_e32 v7, exec_lo, v7
	v_xor_b32_e32 v15, vcc_hi, v5
	v_xor_b32_e32 v5, vcc_lo, v5
	v_and_b32_e32 v7, v7, v5
	v_lshlrev_b32_e32 v5, 29, v6
	v_cmp_gt_i64_e32 vcc, 0, v[4:5]
	v_not_b32_e32 v5, v5
	v_ashrrev_i32_e32 v5, 31, v5
	v_and_b32_e32 v14, v14, v15
	v_xor_b32_e32 v15, vcc_hi, v5
	v_xor_b32_e32 v5, vcc_lo, v5
	v_and_b32_e32 v7, v7, v5
	v_lshlrev_b32_e32 v5, 28, v6
	v_cmp_gt_i64_e32 vcc, 0, v[4:5]
	v_not_b32_e32 v5, v5
	v_ashrrev_i32_e32 v5, 31, v5
	v_and_b32_e32 v14, v14, v15
	v_xor_b32_e32 v15, vcc_hi, v5
	v_xor_b32_e32 v5, vcc_lo, v5
	v_and_b32_e32 v7, v7, v5
	v_lshlrev_b32_e32 v5, 27, v6
	v_cmp_gt_i64_e32 vcc, 0, v[4:5]
	v_not_b32_e32 v5, v5
	v_ashrrev_i32_e32 v5, 31, v5
	v_and_b32_e32 v14, v14, v15
	v_xor_b32_e32 v15, vcc_hi, v5
	v_xor_b32_e32 v5, vcc_lo, v5
	v_and_b32_e32 v7, v7, v5
	v_lshlrev_b32_e32 v5, 26, v6
	v_cmp_gt_i64_e32 vcc, 0, v[4:5]
	v_not_b32_e32 v5, v5
	v_ashrrev_i32_e32 v5, 31, v5
	v_and_b32_e32 v14, v14, v15
	v_xor_b32_e32 v15, vcc_hi, v5
	v_xor_b32_e32 v5, vcc_lo, v5
	v_and_b32_e32 v7, v7, v5
	v_lshlrev_b32_e32 v5, 25, v6
	v_cmp_gt_i64_e32 vcc, 0, v[4:5]
	v_not_b32_e32 v5, v5
	v_ashrrev_i32_e32 v5, 31, v5
	v_and_b32_e32 v14, v14, v15
	v_xor_b32_e32 v15, vcc_hi, v5
	v_xor_b32_e32 v5, vcc_lo, v5
	v_and_b32_e32 v7, v7, v5
	v_lshlrev_b32_e32 v5, 24, v6
	s_waitcnt lgkmcnt(0)
	; wave barrier
	ds_read_b32 v12, v12
	s_waitcnt lgkmcnt(0)
	; wave barrier
	ds_write2_b32 v9, v4, v4 offset0:1 offset1:2
	ds_write2_b32 v9, v4, v4 offset0:3 offset1:4
	v_cmp_gt_i64_e32 vcc, 0, v[4:5]
	v_not_b32_e32 v4, v5
	v_ashrrev_i32_e32 v4, 31, v4
	v_xor_b32_e32 v5, vcc_hi, v4
	v_xor_b32_e32 v4, vcc_lo, v4
	v_and_b32_e32 v14, v14, v15
	v_and_b32_e32 v4, v7, v4
	v_lshl_add_u32 v11, v6, 2, v11
	v_and_b32_e32 v5, v14, v5
	v_mbcnt_lo_u32_b32 v6, v4, 0
	v_mbcnt_hi_u32_b32 v14, v5, v6
	v_cmp_ne_u64_e32 vcc, 0, v[4:5]
	v_cmp_eq_u32_e64 s[14:15], 0, v14
	s_and_b64 s[18:19], vcc, s[14:15]
	s_waitcnt lgkmcnt(0)
	; wave barrier
	; wave barrier
	s_and_saveexec_b64 s[14:15], s[18:19]
; %bb.25:
	v_bcnt_u32_b32 v4, v4, 0
	v_bcnt_u32_b32 v4, v5, v4
	ds_write_b32 v11, v4 offset:4
; %bb.26:
	s_or_b64 exec, exec, s[14:15]
	; wave barrier
	s_waitcnt lgkmcnt(0)
	; wave barrier
	ds_read2_b32 v[6:7], v9 offset0:1 offset1:2
	ds_read2_b32 v[4:5], v9 offset0:3 offset1:4
	s_waitcnt lgkmcnt(1)
	v_add_u32_e32 v15, v7, v6
	s_waitcnt lgkmcnt(0)
	v_add3_u32 v5, v15, v4, v5
	s_nop 1
	v_mov_b32_dpp v15, v5 row_shr:1 row_mask:0xf bank_mask:0xf
	v_cndmask_b32_e64 v15, v15, 0, s[12:13]
	v_add_u32_e32 v5, v15, v5
	s_nop 1
	v_mov_b32_dpp v15, v5 row_shr:2 row_mask:0xf bank_mask:0xf
	v_cndmask_b32_e64 v15, 0, v15, s[10:11]
	v_add_u32_e32 v5, v5, v15
	s_nop 1
	v_mov_b32_dpp v15, v5 row_shr:4 row_mask:0xf bank_mask:0xf
	v_cndmask_b32_e64 v15, 0, v15, s[8:9]
	v_add_u32_e32 v5, v5, v15
	s_nop 1
	v_mov_b32_dpp v15, v5 row_shr:8 row_mask:0xf bank_mask:0xf
	v_cndmask_b32_e64 v15, 0, v15, s[6:7]
	v_add_u32_e32 v5, v5, v15
	s_nop 1
	v_mov_b32_dpp v15, v5 row_bcast:15 row_mask:0xf bank_mask:0xf
	v_cndmask_b32_e64 v15, v15, 0, s[4:5]
	v_add_u32_e32 v5, v5, v15
	s_nop 1
	v_mov_b32_dpp v15, v5 row_bcast:31 row_mask:0xf bank_mask:0xf
	v_cndmask_b32_e64 v15, 0, v15, s[2:3]
	v_add_u32_e32 v5, v5, v15
	s_and_saveexec_b64 s[2:3], s[0:1]
; %bb.27:
	v_mov_b32_e32 v15, 0
	ds_write_b32 v15, v5
; %bb.28:
	s_or_b64 exec, exec, s[2:3]
	ds_bpermute_b32 v5, v10, v5
	s_waitcnt lgkmcnt(0)
	; wave barrier
	v_cndmask_b32_e64 v5, v5, 0, s[16:17]
	v_add_u32_e32 v6, v5, v6
	v_add_u32_e32 v7, v6, v7
	;; [unrolled: 1-line block ×3, first 2 shown]
	ds_write2_b32 v9, v5, v6 offset0:1 offset1:2
	ds_write2_b32 v9, v7, v4 offset0:3 offset1:4
	s_waitcnt lgkmcnt(0)
	; wave barrier
	ds_read_b32 v4, v11 offset:4
	v_lshlrev_b32_e32 v5, 2, v14
	s_waitcnt lgkmcnt(0)
	; wave barrier
	v_lshl_add_u32 v5, v4, 2, v5
	ds_write_b32 v5, v13
	s_waitcnt lgkmcnt(0)
	; wave barrier
	ds_read_b32 v4, v8
	s_waitcnt lgkmcnt(0)
	; wave barrier
	ds_write_b32 v5, v12
	s_waitcnt lgkmcnt(0)
	; wave barrier
	v_mov_b32_e32 v5, v8
.LBB53_29:
	ds_read_b32 v5, v5
	global_store_dword v[0:1], v4, off
	s_waitcnt lgkmcnt(0)
	global_store_dword v[2:3], v5, off
	s_endpgm
	.section	.rodata,"a",@progbits
	.p2align	6, 0x0
	.amdhsa_kernel _Z21sort_key_value_kernelILj64ELj1ELb0ELb0EjiEvPT3_PT4_jj
		.amdhsa_group_segment_fixed_size 1040
		.amdhsa_private_segment_fixed_size 0
		.amdhsa_kernarg_size 280
		.amdhsa_user_sgpr_count 6
		.amdhsa_user_sgpr_private_segment_buffer 1
		.amdhsa_user_sgpr_dispatch_ptr 0
		.amdhsa_user_sgpr_queue_ptr 0
		.amdhsa_user_sgpr_kernarg_segment_ptr 1
		.amdhsa_user_sgpr_dispatch_id 0
		.amdhsa_user_sgpr_flat_scratch_init 0
		.amdhsa_user_sgpr_private_segment_size 0
		.amdhsa_uses_dynamic_stack 0
		.amdhsa_system_sgpr_private_segment_wavefront_offset 0
		.amdhsa_system_sgpr_workgroup_id_x 1
		.amdhsa_system_sgpr_workgroup_id_y 0
		.amdhsa_system_sgpr_workgroup_id_z 0
		.amdhsa_system_sgpr_workgroup_info 0
		.amdhsa_system_vgpr_workitem_id 2
		.amdhsa_next_free_vgpr 21
		.amdhsa_next_free_sgpr 26
		.amdhsa_reserve_vcc 1
		.amdhsa_reserve_flat_scratch 0
		.amdhsa_float_round_mode_32 0
		.amdhsa_float_round_mode_16_64 0
		.amdhsa_float_denorm_mode_32 3
		.amdhsa_float_denorm_mode_16_64 3
		.amdhsa_dx10_clamp 1
		.amdhsa_ieee_mode 1
		.amdhsa_fp16_overflow 0
		.amdhsa_exception_fp_ieee_invalid_op 0
		.amdhsa_exception_fp_denorm_src 0
		.amdhsa_exception_fp_ieee_div_zero 0
		.amdhsa_exception_fp_ieee_overflow 0
		.amdhsa_exception_fp_ieee_underflow 0
		.amdhsa_exception_fp_ieee_inexact 0
		.amdhsa_exception_int_div_zero 0
	.end_amdhsa_kernel
	.section	.text._Z21sort_key_value_kernelILj64ELj1ELb0ELb0EjiEvPT3_PT4_jj,"axG",@progbits,_Z21sort_key_value_kernelILj64ELj1ELb0ELb0EjiEvPT3_PT4_jj,comdat
.Lfunc_end53:
	.size	_Z21sort_key_value_kernelILj64ELj1ELb0ELb0EjiEvPT3_PT4_jj, .Lfunc_end53-_Z21sort_key_value_kernelILj64ELj1ELb0ELb0EjiEvPT3_PT4_jj
                                        ; -- End function
	.set _Z21sort_key_value_kernelILj64ELj1ELb0ELb0EjiEvPT3_PT4_jj.num_vgpr, 21
	.set _Z21sort_key_value_kernelILj64ELj1ELb0ELb0EjiEvPT3_PT4_jj.num_agpr, 0
	.set _Z21sort_key_value_kernelILj64ELj1ELb0ELb0EjiEvPT3_PT4_jj.numbered_sgpr, 26
	.set _Z21sort_key_value_kernelILj64ELj1ELb0ELb0EjiEvPT3_PT4_jj.num_named_barrier, 0
	.set _Z21sort_key_value_kernelILj64ELj1ELb0ELb0EjiEvPT3_PT4_jj.private_seg_size, 0
	.set _Z21sort_key_value_kernelILj64ELj1ELb0ELb0EjiEvPT3_PT4_jj.uses_vcc, 1
	.set _Z21sort_key_value_kernelILj64ELj1ELb0ELb0EjiEvPT3_PT4_jj.uses_flat_scratch, 0
	.set _Z21sort_key_value_kernelILj64ELj1ELb0ELb0EjiEvPT3_PT4_jj.has_dyn_sized_stack, 0
	.set _Z21sort_key_value_kernelILj64ELj1ELb0ELb0EjiEvPT3_PT4_jj.has_recursion, 0
	.set _Z21sort_key_value_kernelILj64ELj1ELb0ELb0EjiEvPT3_PT4_jj.has_indirect_call, 0
	.section	.AMDGPU.csdata,"",@progbits
; Kernel info:
; codeLenInByte = 3988
; TotalNumSgprs: 30
; NumVgprs: 21
; ScratchSize: 0
; MemoryBound: 0
; FloatMode: 240
; IeeeMode: 1
; LDSByteSize: 1040 bytes/workgroup (compile time only)
; SGPRBlocks: 3
; VGPRBlocks: 5
; NumSGPRsForWavesPerEU: 30
; NumVGPRsForWavesPerEU: 21
; Occupancy: 10
; WaveLimiterHint : 0
; COMPUTE_PGM_RSRC2:SCRATCH_EN: 0
; COMPUTE_PGM_RSRC2:USER_SGPR: 6
; COMPUTE_PGM_RSRC2:TRAP_HANDLER: 0
; COMPUTE_PGM_RSRC2:TGID_X_EN: 1
; COMPUTE_PGM_RSRC2:TGID_Y_EN: 0
; COMPUTE_PGM_RSRC2:TGID_Z_EN: 0
; COMPUTE_PGM_RSRC2:TIDIG_COMP_CNT: 2
	.section	.text._Z21sort_key_value_kernelILj64ELj1ELb0ELb0EooEvPT3_PT4_jj,"axG",@progbits,_Z21sort_key_value_kernelILj64ELj1ELb0ELb0EooEvPT3_PT4_jj,comdat
	.protected	_Z21sort_key_value_kernelILj64ELj1ELb0ELb0EooEvPT3_PT4_jj ; -- Begin function _Z21sort_key_value_kernelILj64ELj1ELb0ELb0EooEvPT3_PT4_jj
	.globl	_Z21sort_key_value_kernelILj64ELj1ELb0ELb0EooEvPT3_PT4_jj
	.p2align	8
	.type	_Z21sort_key_value_kernelILj64ELj1ELb0ELb0EooEvPT3_PT4_jj,@function
_Z21sort_key_value_kernelILj64ELj1ELb0ELb0EooEvPT3_PT4_jj: ; @_Z21sort_key_value_kernelILj64ELj1ELb0ELb0EooEvPT3_PT4_jj
; %bb.0:
	s_load_dwordx4 s[0:3], s[4:5], 0x0
	s_load_dwordx2 s[22:23], s[4:5], 0x10
	s_lshl_b32 s6, s6, 6
	s_mov_b32 s7, 0
	s_lshl_b64 s[6:7], s[6:7], 4
	s_waitcnt lgkmcnt(0)
	s_add_u32 s18, s0, s6
	s_addc_u32 s19, s1, s7
	v_lshlrev_b32_e32 v29, 4, v0
	s_add_u32 s20, s2, s6
	s_addc_u32 s21, s3, s7
	global_load_dwordx4 v[3:6], v29, s[18:19]
	global_load_dwordx4 v[7:10], v29, s[20:21]
	s_load_dword s4, s[4:5], 0x24
	s_cmp_eq_u32 s22, 0
	s_cselect_b64 s[0:1], -1, 0
	s_cmpk_eq_i32 s23, 0x80
	s_cselect_b64 s[2:3], -1, 0
	s_and_b64 s[24:25], s[0:1], s[2:3]
	s_waitcnt lgkmcnt(0)
	s_lshr_b32 s0, s4, 16
	v_mad_u32_u24 v1, v2, s0, v1
	v_mbcnt_lo_u32_b32 v2, -1, 0
	v_mbcnt_hi_u32_b32 v2, -1, v2
	s_and_b32 s1, s4, 0xffff
	v_and_b32_e32 v11, 15, v2
	v_mad_u32_u24 v1, v1, s1, v0
	v_cmp_eq_u32_e64 s[0:1], 0, v11
	v_cmp_lt_u32_e64 s[2:3], 1, v11
	v_cmp_lt_u32_e64 s[4:5], 3, v11
	v_cmp_lt_u32_e64 s[6:7], 7, v11
	v_and_b32_e32 v11, 16, v2
	v_cmp_eq_u32_e64 s[8:9], 0, v11
	v_subrev_co_u32_e32 v11, vcc, 1, v2
	v_and_b32_e32 v12, 64, v2
	v_cmp_lt_i32_e64 s[14:15], v11, v12
	v_cndmask_b32_e64 v11, v11, v2, s[14:15]
	v_cmp_eq_u32_e64 s[14:15], 0, v0
	v_lshrrev_b32_e32 v1, 4, v1
	v_mov_b32_e32 v27, 0
	v_mov_b32_e32 v34, s19
	v_mov_b32_e32 v33, s21
	v_cmp_lt_u32_e64 s[10:11], 31, v2
	v_cmp_eq_u32_e64 s[12:13], 63, v0
	v_lshlrev_b32_e32 v30, 2, v11
	s_or_b64 s[16:17], s[14:15], vcc
	v_lshlrev_b32_e32 v31, 4, v2
	v_and_b32_e32 v32, 0xffffffc, v1
	s_and_b64 vcc, exec, s[24:25]
	s_cbranch_vccnz .LBB54_9
; %bb.1:
	s_waitcnt vmcnt(0)
	v_mov_b32_e32 v24, v8
	v_mov_b32_e32 v26, v10
	;; [unrolled: 1-line block ×4, first 2 shown]
	s_sub_i32 s19, s23, s22
	v_mov_b32_e32 v23, v7
	v_mov_b32_e32 v25, v9
	;; [unrolled: 1-line block ×4, first 2 shown]
	s_branch .LBB54_3
.LBB54_2:                               ;   in Loop: Header=BB54_3 Depth=1
	s_andn2_b64 vcc, exec, s[14:15]
	s_cbranch_vccz .LBB54_10
.LBB54_3:                               ; =>This Inner Loop Header: Depth=1
	v_mov_b32_e32 v17, v21
	v_mov_b32_e32 v15, v19
	;; [unrolled: 1-line block ×4, first 2 shown]
	s_sub_i32 s15, 64, s22
	v_lshrrev_b64 v[1:2], s22, v[15:16]
	v_lshlrev_b64 v[19:20], s15, v[17:18]
	s_min_u32 s14, s19, 8
	s_sub_i32 s15, s22, 64
	v_or_b32_e32 v19, v1, v19
	v_lshrrev_b64 v[1:2], s15, v[17:18]
	s_cmp_lt_u32 s22, 64
	s_cselect_b64 vcc, -1, 0
	s_cmp_eq_u32 s22, 0
	v_cndmask_b32_e32 v1, v1, v19, vcc
	s_cselect_b64 vcc, -1, 0
	v_cndmask_b32_e32 v1, v1, v15, vcc
	v_bfe_u32 v1, v1, 0, s14
	v_and_b32_e32 v2, 1, v1
	v_add_co_u32_e32 v19, vcc, -1, v2
	v_addc_co_u32_e64 v20, s[14:15], 0, -1, vcc
	v_cmp_ne_u32_e32 vcc, 0, v2
	v_lshlrev_b32_e32 v28, 30, v1
	v_xor_b32_e32 v2, vcc_hi, v20
	v_xor_b32_e32 v19, vcc_lo, v19
	v_cmp_gt_i64_e32 vcc, 0, v[27:28]
	v_not_b32_e32 v20, v28
	v_ashrrev_i32_e32 v20, 31, v20
	v_and_b32_e32 v19, exec_lo, v19
	v_xor_b32_e32 v22, vcc_hi, v20
	v_xor_b32_e32 v20, vcc_lo, v20
	v_lshlrev_b32_e32 v28, 29, v1
	v_and_b32_e32 v19, v19, v20
	v_cmp_gt_i64_e32 vcc, 0, v[27:28]
	v_not_b32_e32 v20, v28
	v_and_b32_e32 v2, exec_hi, v2
	v_ashrrev_i32_e32 v20, 31, v20
	v_and_b32_e32 v2, v2, v22
	v_xor_b32_e32 v22, vcc_hi, v20
	v_xor_b32_e32 v20, vcc_lo, v20
	v_lshlrev_b32_e32 v28, 28, v1
	v_and_b32_e32 v19, v19, v20
	v_cmp_gt_i64_e32 vcc, 0, v[27:28]
	v_not_b32_e32 v20, v28
	v_ashrrev_i32_e32 v20, 31, v20
	v_and_b32_e32 v2, v2, v22
	v_xor_b32_e32 v22, vcc_hi, v20
	v_xor_b32_e32 v20, vcc_lo, v20
	v_lshlrev_b32_e32 v28, 27, v1
	v_and_b32_e32 v19, v19, v20
	v_cmp_gt_i64_e32 vcc, 0, v[27:28]
	v_not_b32_e32 v20, v28
	;; [unrolled: 8-line block ×4, first 2 shown]
	v_ashrrev_i32_e32 v20, 31, v20
	v_lshlrev_b32_e32 v28, 24, v1
	v_lshl_add_u32 v21, v1, 2, v32
	v_and_b32_e32 v2, v2, v22
	v_xor_b32_e32 v22, vcc_hi, v20
	v_xor_b32_e32 v20, vcc_lo, v20
	v_cmp_gt_i64_e32 vcc, 0, v[27:28]
	v_not_b32_e32 v1, v28
	v_ashrrev_i32_e32 v1, 31, v1
	v_and_b32_e32 v19, v19, v20
	v_xor_b32_e32 v20, vcc_hi, v1
	v_xor_b32_e32 v1, vcc_lo, v1
	v_and_b32_e32 v2, v2, v22
	v_and_b32_e32 v1, v19, v1
	;; [unrolled: 1-line block ×3, first 2 shown]
	v_mbcnt_lo_u32_b32 v19, v1, 0
	v_mbcnt_hi_u32_b32 v22, v2, v19
	v_cmp_ne_u64_e32 vcc, 0, v[1:2]
	v_mov_b32_e32 v13, v25
	v_mov_b32_e32 v11, v23
	v_cmp_eq_u32_e64 s[14:15], 0, v22
	v_mov_b32_e32 v14, v26
	v_mov_b32_e32 v12, v24
	s_and_b64 s[24:25], vcc, s[14:15]
	ds_write2_b32 v29, v27, v27 offset0:1 offset1:2
	ds_write2_b32 v29, v27, v27 offset0:3 offset1:4
	s_waitcnt lgkmcnt(0)
	; wave barrier
	; wave barrier
	s_and_saveexec_b64 s[14:15], s[24:25]
; %bb.4:                                ;   in Loop: Header=BB54_3 Depth=1
	v_bcnt_u32_b32 v1, v1, 0
	v_bcnt_u32_b32 v1, v2, v1
	ds_write_b32 v21, v1 offset:4
; %bb.5:                                ;   in Loop: Header=BB54_3 Depth=1
	s_or_b64 exec, exec, s[14:15]
	; wave barrier
	s_waitcnt lgkmcnt(0)
	; wave barrier
	ds_read2_b32 v[19:20], v29 offset0:1 offset1:2
	ds_read2_b32 v[1:2], v29 offset0:3 offset1:4
	s_waitcnt lgkmcnt(1)
	v_add_u32_e32 v23, v20, v19
	s_waitcnt lgkmcnt(0)
	v_add3_u32 v2, v23, v1, v2
	s_nop 1
	v_mov_b32_dpp v23, v2 row_shr:1 row_mask:0xf bank_mask:0xf
	v_cndmask_b32_e64 v23, v23, 0, s[0:1]
	v_add_u32_e32 v2, v23, v2
	s_nop 1
	v_mov_b32_dpp v23, v2 row_shr:2 row_mask:0xf bank_mask:0xf
	v_cndmask_b32_e64 v23, 0, v23, s[2:3]
	v_add_u32_e32 v2, v2, v23
	s_nop 1
	v_mov_b32_dpp v23, v2 row_shr:4 row_mask:0xf bank_mask:0xf
	v_cndmask_b32_e64 v23, 0, v23, s[4:5]
	v_add_u32_e32 v2, v2, v23
	s_nop 1
	v_mov_b32_dpp v23, v2 row_shr:8 row_mask:0xf bank_mask:0xf
	v_cndmask_b32_e64 v23, 0, v23, s[6:7]
	v_add_u32_e32 v2, v2, v23
	s_nop 1
	v_mov_b32_dpp v23, v2 row_bcast:15 row_mask:0xf bank_mask:0xf
	v_cndmask_b32_e64 v23, v23, 0, s[8:9]
	v_add_u32_e32 v2, v2, v23
	s_nop 1
	v_mov_b32_dpp v23, v2 row_bcast:31 row_mask:0xf bank_mask:0xf
	v_cndmask_b32_e64 v23, 0, v23, s[10:11]
	v_add_u32_e32 v2, v2, v23
	s_and_saveexec_b64 s[14:15], s[12:13]
; %bb.6:                                ;   in Loop: Header=BB54_3 Depth=1
	ds_write_b32 v27, v2
; %bb.7:                                ;   in Loop: Header=BB54_3 Depth=1
	s_or_b64 exec, exec, s[14:15]
	ds_bpermute_b32 v2, v30, v2
	s_waitcnt lgkmcnt(0)
	; wave barrier
	s_add_i32 s22, s22, 8
	s_cmp_ge_u32 s22, s23
	v_cndmask_b32_e64 v2, v2, 0, s[16:17]
	v_add_u32_e32 v19, v2, v19
	v_add_u32_e32 v20, v19, v20
	;; [unrolled: 1-line block ×3, first 2 shown]
	ds_write2_b32 v29, v2, v19 offset0:1 offset1:2
	ds_write2_b32 v29, v20, v1 offset0:3 offset1:4
	s_waitcnt lgkmcnt(0)
	; wave barrier
	ds_read_b32 v1, v21 offset:4
	v_lshlrev_b32_e32 v2, 4, v22
	s_mov_b64 s[14:15], -1
	s_waitcnt lgkmcnt(0)
                                        ; implicit-def: $vgpr19_vgpr20
                                        ; implicit-def: $vgpr23_vgpr24
	v_lshl_add_u32 v1, v1, 4, v2
	s_cbranch_scc1 .LBB54_2
; %bb.8:                                ;   in Loop: Header=BB54_3 Depth=1
	; wave barrier
	ds_write_b128 v1, v[15:18]
	s_waitcnt lgkmcnt(0)
	; wave barrier
	ds_read_b128 v[19:22], v31
	s_waitcnt lgkmcnt(0)
	; wave barrier
	ds_write_b128 v1, v[11:14]
	s_waitcnt lgkmcnt(0)
	; wave barrier
	ds_read_b128 v[23:26], v31
	s_add_i32 s19, s19, -8
	s_mov_b64 s[14:15], 0
	s_waitcnt lgkmcnt(0)
	; wave barrier
	s_branch .LBB54_2
.LBB54_9:
	s_mov_b64 s[14:15], -1
                                        ; implicit-def: $vgpr2
                                        ; implicit-def: $vgpr15_vgpr16
	s_branch .LBB54_11
.LBB54_10:
	v_lshlrev_b32_e32 v2, 4, v0
	; wave barrier
	ds_write_b128 v1, v[15:18]
	s_waitcnt lgkmcnt(0)
	; wave barrier
	ds_read_b128 v[15:18], v2
	s_waitcnt lgkmcnt(0)
	; wave barrier
	ds_write_b128 v1, v[11:14]
	s_waitcnt lgkmcnt(0)
	; wave barrier
	s_mov_b64 s[14:15], 0
.LBB54_11:
	v_add_co_u32_e32 v0, vcc, s18, v29
	v_addc_co_u32_e32 v1, vcc, 0, v34, vcc
	v_add_co_u32_e32 v19, vcc, s20, v29
	v_addc_co_u32_e32 v20, vcc, 0, v33, vcc
	s_and_b64 vcc, exec, s[14:15]
	s_cbranch_vccz .LBB54_21
; %bb.12:
	s_mov_b32 s18, 0
	v_mov_b32_e32 v2, 0
	s_branch .LBB54_14
.LBB54_13:                              ;   in Loop: Header=BB54_14 Depth=1
	s_andn2_b64 vcc, exec, s[14:15]
	s_cbranch_vccz .LBB54_20
.LBB54_14:                              ; =>This Inner Loop Header: Depth=1
	s_waitcnt vmcnt(1)
	v_mov_b32_e32 v16, v4
	v_mov_b32_e32 v18, v6
	;; [unrolled: 1-line block ×4, first 2 shown]
	v_lshrrev_b64 v[3:4], s18, v[15:16]
	s_sub_i32 s14, 64, s18
	v_lshlrev_b64 v[4:5], s14, v[17:18]
	s_sub_i32 s14, s18, 64
	v_or_b32_e32 v5, v3, v4
	v_lshrrev_b64 v[3:4], s14, v[17:18]
	s_cmp_lt_u32 s18, 64
	s_cselect_b64 vcc, -1, 0
	s_cmp_eq_u32 s18, 0
	v_cndmask_b32_e32 v3, v3, v5, vcc
	s_cselect_b64 vcc, -1, 0
	v_cndmask_b32_e32 v4, v3, v15, vcc
	s_waitcnt vmcnt(0)
	v_mov_b32_e32 v12, v8
	v_and_b32_e32 v3, 0xff, v4
	v_mov_b32_e32 v11, v7
	v_lshl_add_u32 v7, v3, 2, v32
	v_and_b32_e32 v3, 1, v4
	v_add_co_u32_e32 v5, vcc, -1, v3
	v_addc_co_u32_e64 v6, s[14:15], 0, -1, vcc
	v_cmp_ne_u32_e32 vcc, 0, v3
	v_xor_b32_e32 v3, vcc_hi, v6
	v_and_b32_e32 v6, exec_hi, v3
	v_lshlrev_b32_e32 v3, 30, v4
	v_xor_b32_e32 v5, vcc_lo, v5
	v_cmp_gt_i64_e32 vcc, 0, v[2:3]
	v_not_b32_e32 v3, v3
	v_ashrrev_i32_e32 v3, 31, v3
	v_and_b32_e32 v5, exec_lo, v5
	v_xor_b32_e32 v8, vcc_hi, v3
	v_xor_b32_e32 v3, vcc_lo, v3
	v_and_b32_e32 v5, v5, v3
	v_lshlrev_b32_e32 v3, 29, v4
	v_cmp_gt_i64_e32 vcc, 0, v[2:3]
	v_not_b32_e32 v3, v3
	v_ashrrev_i32_e32 v3, 31, v3
	v_and_b32_e32 v6, v6, v8
	v_xor_b32_e32 v8, vcc_hi, v3
	v_xor_b32_e32 v3, vcc_lo, v3
	v_and_b32_e32 v5, v5, v3
	v_lshlrev_b32_e32 v3, 28, v4
	v_cmp_gt_i64_e32 vcc, 0, v[2:3]
	v_not_b32_e32 v3, v3
	v_ashrrev_i32_e32 v3, 31, v3
	v_and_b32_e32 v6, v6, v8
	;; [unrolled: 8-line block ×5, first 2 shown]
	v_xor_b32_e32 v8, vcc_hi, v3
	v_xor_b32_e32 v3, vcc_lo, v3
	v_and_b32_e32 v5, v5, v3
	v_lshlrev_b32_e32 v3, 24, v4
	v_cmp_gt_i64_e32 vcc, 0, v[2:3]
	v_not_b32_e32 v3, v3
	v_ashrrev_i32_e32 v3, 31, v3
	v_xor_b32_e32 v4, vcc_hi, v3
	v_xor_b32_e32 v3, vcc_lo, v3
	v_and_b32_e32 v6, v6, v8
	v_and_b32_e32 v3, v5, v3
	;; [unrolled: 1-line block ×3, first 2 shown]
	v_mbcnt_lo_u32_b32 v5, v3, 0
	v_mbcnt_hi_u32_b32 v8, v4, v5
	v_cmp_ne_u64_e32 vcc, 0, v[3:4]
	v_mov_b32_e32 v14, v10
	v_cmp_eq_u32_e64 s[14:15], 0, v8
	v_mov_b32_e32 v13, v9
	s_and_b64 s[20:21], vcc, s[14:15]
	ds_write2_b32 v29, v2, v2 offset0:1 offset1:2
	ds_write2_b32 v29, v2, v2 offset0:3 offset1:4
	s_waitcnt lgkmcnt(0)
	; wave barrier
	; wave barrier
	s_and_saveexec_b64 s[14:15], s[20:21]
; %bb.15:                               ;   in Loop: Header=BB54_14 Depth=1
	v_bcnt_u32_b32 v3, v3, 0
	v_bcnt_u32_b32 v3, v4, v3
	ds_write_b32 v7, v3 offset:4
; %bb.16:                               ;   in Loop: Header=BB54_14 Depth=1
	s_or_b64 exec, exec, s[14:15]
	; wave barrier
	s_waitcnt lgkmcnt(0)
	; wave barrier
	ds_read2_b32 v[5:6], v29 offset0:1 offset1:2
	ds_read2_b32 v[3:4], v29 offset0:3 offset1:4
	s_waitcnt lgkmcnt(1)
	v_add_u32_e32 v9, v6, v5
	s_waitcnt lgkmcnt(0)
	v_add3_u32 v4, v9, v3, v4
	s_nop 1
	v_mov_b32_dpp v9, v4 row_shr:1 row_mask:0xf bank_mask:0xf
	v_cndmask_b32_e64 v9, v9, 0, s[0:1]
	v_add_u32_e32 v4, v9, v4
	s_nop 1
	v_mov_b32_dpp v9, v4 row_shr:2 row_mask:0xf bank_mask:0xf
	v_cndmask_b32_e64 v9, 0, v9, s[2:3]
	v_add_u32_e32 v4, v4, v9
	;; [unrolled: 4-line block ×4, first 2 shown]
	s_nop 1
	v_mov_b32_dpp v9, v4 row_bcast:15 row_mask:0xf bank_mask:0xf
	v_cndmask_b32_e64 v9, v9, 0, s[8:9]
	v_add_u32_e32 v4, v4, v9
	s_nop 1
	v_mov_b32_dpp v9, v4 row_bcast:31 row_mask:0xf bank_mask:0xf
	v_cndmask_b32_e64 v9, 0, v9, s[10:11]
	v_add_u32_e32 v4, v4, v9
	s_and_saveexec_b64 s[14:15], s[12:13]
; %bb.17:                               ;   in Loop: Header=BB54_14 Depth=1
	ds_write_b32 v2, v4
; %bb.18:                               ;   in Loop: Header=BB54_14 Depth=1
	s_or_b64 exec, exec, s[14:15]
	ds_bpermute_b32 v4, v30, v4
	s_waitcnt lgkmcnt(0)
	; wave barrier
	s_cmpk_gt_u32 s18, 0x77
	s_mov_b64 s[14:15], -1
	v_cndmask_b32_e64 v4, v4, 0, s[16:17]
	v_add_u32_e32 v5, v4, v5
	v_add_u32_e32 v6, v5, v6
	v_add_u32_e32 v3, v6, v3
	ds_write2_b32 v29, v4, v5 offset0:1 offset1:2
	ds_write2_b32 v29, v6, v3 offset0:3 offset1:4
	s_waitcnt lgkmcnt(0)
	; wave barrier
	ds_read_b32 v3, v7 offset:4
	s_waitcnt lgkmcnt(0)
	v_add_u32_e32 v21, v3, v8
                                        ; implicit-def: $vgpr3_vgpr4
                                        ; implicit-def: $vgpr7_vgpr8
	s_cbranch_scc1 .LBB54_13
; %bb.19:                               ;   in Loop: Header=BB54_14 Depth=1
	v_lshlrev_b32_e32 v7, 4, v21
	; wave barrier
	ds_write_b128 v7, v[15:18]
	s_waitcnt lgkmcnt(0)
	; wave barrier
	ds_read_b128 v[3:6], v31
	s_waitcnt lgkmcnt(0)
	; wave barrier
	ds_write_b128 v7, v[11:14]
	s_waitcnt lgkmcnt(0)
	; wave barrier
	ds_read_b128 v[7:10], v31
	s_add_i32 s18, s18, 8
	s_mov_b64 s[14:15], 0
	s_waitcnt lgkmcnt(0)
	; wave barrier
	s_branch .LBB54_13
.LBB54_20:
	v_lshlrev_b32_e32 v2, 4, v21
	; wave barrier
	ds_write_b128 v2, v[15:18]
	s_waitcnt lgkmcnt(0)
	; wave barrier
	ds_read_b128 v[15:18], v29
	s_waitcnt lgkmcnt(0)
	; wave barrier
	ds_write_b128 v2, v[11:14]
	v_mov_b32_e32 v2, v29
	s_waitcnt lgkmcnt(0)
	; wave barrier
.LBB54_21:
	s_waitcnt vmcnt(1)
	ds_read_b128 v[2:5], v2
	global_store_dwordx4 v[0:1], v[15:18], off
	s_waitcnt lgkmcnt(0)
	global_store_dwordx4 v[19:20], v[2:5], off
	s_endpgm
	.section	.rodata,"a",@progbits
	.p2align	6, 0x0
	.amdhsa_kernel _Z21sort_key_value_kernelILj64ELj1ELb0ELb0EooEvPT3_PT4_jj
		.amdhsa_group_segment_fixed_size 1040
		.amdhsa_private_segment_fixed_size 0
		.amdhsa_kernarg_size 280
		.amdhsa_user_sgpr_count 6
		.amdhsa_user_sgpr_private_segment_buffer 1
		.amdhsa_user_sgpr_dispatch_ptr 0
		.amdhsa_user_sgpr_queue_ptr 0
		.amdhsa_user_sgpr_kernarg_segment_ptr 1
		.amdhsa_user_sgpr_dispatch_id 0
		.amdhsa_user_sgpr_flat_scratch_init 0
		.amdhsa_user_sgpr_private_segment_size 0
		.amdhsa_uses_dynamic_stack 0
		.amdhsa_system_sgpr_private_segment_wavefront_offset 0
		.amdhsa_system_sgpr_workgroup_id_x 1
		.amdhsa_system_sgpr_workgroup_id_y 0
		.amdhsa_system_sgpr_workgroup_id_z 0
		.amdhsa_system_sgpr_workgroup_info 0
		.amdhsa_system_vgpr_workitem_id 2
		.amdhsa_next_free_vgpr 35
		.amdhsa_next_free_sgpr 26
		.amdhsa_reserve_vcc 1
		.amdhsa_reserve_flat_scratch 0
		.amdhsa_float_round_mode_32 0
		.amdhsa_float_round_mode_16_64 0
		.amdhsa_float_denorm_mode_32 3
		.amdhsa_float_denorm_mode_16_64 3
		.amdhsa_dx10_clamp 1
		.amdhsa_ieee_mode 1
		.amdhsa_fp16_overflow 0
		.amdhsa_exception_fp_ieee_invalid_op 0
		.amdhsa_exception_fp_denorm_src 0
		.amdhsa_exception_fp_ieee_div_zero 0
		.amdhsa_exception_fp_ieee_overflow 0
		.amdhsa_exception_fp_ieee_underflow 0
		.amdhsa_exception_fp_ieee_inexact 0
		.amdhsa_exception_int_div_zero 0
	.end_amdhsa_kernel
	.section	.text._Z21sort_key_value_kernelILj64ELj1ELb0ELb0EooEvPT3_PT4_jj,"axG",@progbits,_Z21sort_key_value_kernelILj64ELj1ELb0ELb0EooEvPT3_PT4_jj,comdat
.Lfunc_end54:
	.size	_Z21sort_key_value_kernelILj64ELj1ELb0ELb0EooEvPT3_PT4_jj, .Lfunc_end54-_Z21sort_key_value_kernelILj64ELj1ELb0ELb0EooEvPT3_PT4_jj
                                        ; -- End function
	.set _Z21sort_key_value_kernelILj64ELj1ELb0ELb0EooEvPT3_PT4_jj.num_vgpr, 35
	.set _Z21sort_key_value_kernelILj64ELj1ELb0ELb0EooEvPT3_PT4_jj.num_agpr, 0
	.set _Z21sort_key_value_kernelILj64ELj1ELb0ELb0EooEvPT3_PT4_jj.numbered_sgpr, 26
	.set _Z21sort_key_value_kernelILj64ELj1ELb0ELb0EooEvPT3_PT4_jj.num_named_barrier, 0
	.set _Z21sort_key_value_kernelILj64ELj1ELb0ELb0EooEvPT3_PT4_jj.private_seg_size, 0
	.set _Z21sort_key_value_kernelILj64ELj1ELb0ELb0EooEvPT3_PT4_jj.uses_vcc, 1
	.set _Z21sort_key_value_kernelILj64ELj1ELb0ELb0EooEvPT3_PT4_jj.uses_flat_scratch, 0
	.set _Z21sort_key_value_kernelILj64ELj1ELb0ELb0EooEvPT3_PT4_jj.has_dyn_sized_stack, 0
	.set _Z21sort_key_value_kernelILj64ELj1ELb0ELb0EooEvPT3_PT4_jj.has_recursion, 0
	.set _Z21sort_key_value_kernelILj64ELj1ELb0ELb0EooEvPT3_PT4_jj.has_indirect_call, 0
	.section	.AMDGPU.csdata,"",@progbits
; Kernel info:
; codeLenInByte = 2124
; TotalNumSgprs: 30
; NumVgprs: 35
; ScratchSize: 0
; MemoryBound: 0
; FloatMode: 240
; IeeeMode: 1
; LDSByteSize: 1040 bytes/workgroup (compile time only)
; SGPRBlocks: 3
; VGPRBlocks: 8
; NumSGPRsForWavesPerEU: 30
; NumVGPRsForWavesPerEU: 35
; Occupancy: 7
; WaveLimiterHint : 0
; COMPUTE_PGM_RSRC2:SCRATCH_EN: 0
; COMPUTE_PGM_RSRC2:USER_SGPR: 6
; COMPUTE_PGM_RSRC2:TRAP_HANDLER: 0
; COMPUTE_PGM_RSRC2:TGID_X_EN: 1
; COMPUTE_PGM_RSRC2:TGID_Y_EN: 0
; COMPUTE_PGM_RSRC2:TGID_Z_EN: 0
; COMPUTE_PGM_RSRC2:TIDIG_COMP_CNT: 2
	.section	.text._Z21sort_key_value_kernelILj64ELj1ELb0ELb0EnnEvPT3_PT4_jj,"axG",@progbits,_Z21sort_key_value_kernelILj64ELj1ELb0ELb0EnnEvPT3_PT4_jj,comdat
	.protected	_Z21sort_key_value_kernelILj64ELj1ELb0ELb0EnnEvPT3_PT4_jj ; -- Begin function _Z21sort_key_value_kernelILj64ELj1ELb0ELb0EnnEvPT3_PT4_jj
	.globl	_Z21sort_key_value_kernelILj64ELj1ELb0ELb0EnnEvPT3_PT4_jj
	.p2align	8
	.type	_Z21sort_key_value_kernelILj64ELj1ELb0ELb0EnnEvPT3_PT4_jj,@function
_Z21sort_key_value_kernelILj64ELj1ELb0ELb0EnnEvPT3_PT4_jj: ; @_Z21sort_key_value_kernelILj64ELj1ELb0ELb0EnnEvPT3_PT4_jj
; %bb.0:
	s_load_dwordx4 s[0:3], s[4:5], 0x0
	s_load_dwordx2 s[22:23], s[4:5], 0x10
	s_lshl_b32 s6, s6, 6
	s_mov_b32 s7, 0
	s_lshl_b64 s[6:7], s[6:7], 4
	s_waitcnt lgkmcnt(0)
	s_add_u32 s18, s0, s6
	s_addc_u32 s19, s1, s7
	v_lshlrev_b32_e32 v29, 4, v0
	s_add_u32 s20, s2, s6
	global_load_dwordx4 v[3:6], v29, s[18:19]
	s_addc_u32 s21, s3, s7
	global_load_dwordx4 v[7:10], v29, s[20:21]
	s_load_dword s28, s[4:5], 0x24
	s_cmp_eq_u32 s22, 0
	v_mbcnt_lo_u32_b32 v11, -1, 0
	s_cselect_b64 s[24:25], -1, 0
	s_cmpk_eq_i32 s23, 0x80
	v_mbcnt_hi_u32_b32 v11, -1, v11
	v_mov_b32_e32 v34, s19
	s_cselect_b64 s[26:27], -1, 0
	s_waitcnt lgkmcnt(0)
	s_lshr_b32 s19, s28, 16
	v_subrev_co_u32_e64 v14, s[14:15], 1, v11
	v_and_b32_e32 v15, 64, v11
	v_mov_b32_e32 v33, s21
	s_and_b32 s21, s28, 0xffff
	v_mad_u32_u24 v1, v2, s19, v1
	v_cmp_eq_u32_e32 vcc, 0, v0
	v_cmp_lt_i32_e64 s[16:17], v14, v15
	v_mad_u32_u24 v1, v1, s21, v0
	v_and_b32_e32 v12, 15, v11
	v_and_b32_e32 v13, 16, v11
	v_cmp_lt_u32_e64 s[2:3], 31, v11
	v_lshlrev_b32_e32 v30, 4, v11
	v_cndmask_b32_e64 v11, v14, v11, s[16:17]
	s_or_b64 s[16:17], vcc, s[14:15]
	s_and_b64 s[14:15], s[24:25], s[26:27]
	v_lshrrev_b32_e32 v1, 4, v1
	v_mov_b32_e32 v27, 0
	v_cmp_eq_u32_e64 s[0:1], 63, v0
	v_cmp_eq_u32_e64 s[4:5], 0, v12
	v_cmp_lt_u32_e64 s[6:7], 1, v12
	v_cmp_lt_u32_e64 s[8:9], 3, v12
	;; [unrolled: 1-line block ×3, first 2 shown]
	v_cmp_eq_u32_e64 s[12:13], 0, v13
	v_lshlrev_b32_e32 v31, 2, v11
	s_and_b64 vcc, exec, s[14:15]
	v_and_b32_e32 v32, 0xffffffc, v1
	s_waitcnt vmcnt(1)
	v_xor_b32_e32 v6, 0x80000000, v6
	s_cbranch_vccnz .LBB55_9
; %bb.1:
	s_waitcnt vmcnt(0)
	v_mov_b32_e32 v24, v8
	v_mov_b32_e32 v26, v10
	;; [unrolled: 1-line block ×4, first 2 shown]
	s_sub_i32 s19, s23, s22
	v_mov_b32_e32 v23, v7
	v_mov_b32_e32 v25, v9
	;; [unrolled: 1-line block ×4, first 2 shown]
	s_branch .LBB55_3
.LBB55_2:                               ;   in Loop: Header=BB55_3 Depth=1
	s_andn2_b64 vcc, exec, s[14:15]
	s_cbranch_vccz .LBB55_10
.LBB55_3:                               ; =>This Inner Loop Header: Depth=1
	v_mov_b32_e32 v17, v21
	v_mov_b32_e32 v15, v19
	;; [unrolled: 1-line block ×4, first 2 shown]
	s_sub_i32 s15, 64, s22
	v_lshrrev_b64 v[1:2], s22, v[15:16]
	v_lshlrev_b64 v[19:20], s15, v[17:18]
	s_min_u32 s14, s19, 8
	s_sub_i32 s15, s22, 64
	v_or_b32_e32 v19, v1, v19
	v_lshrrev_b64 v[1:2], s15, v[17:18]
	s_cmp_lt_u32 s22, 64
	s_cselect_b64 vcc, -1, 0
	s_cmp_eq_u32 s22, 0
	v_cndmask_b32_e32 v1, v1, v19, vcc
	s_cselect_b64 vcc, -1, 0
	v_cndmask_b32_e32 v1, v1, v15, vcc
	v_bfe_u32 v1, v1, 0, s14
	v_and_b32_e32 v2, 1, v1
	v_add_co_u32_e32 v19, vcc, -1, v2
	v_addc_co_u32_e64 v20, s[14:15], 0, -1, vcc
	v_cmp_ne_u32_e32 vcc, 0, v2
	v_lshlrev_b32_e32 v28, 30, v1
	v_xor_b32_e32 v2, vcc_hi, v20
	v_xor_b32_e32 v19, vcc_lo, v19
	v_cmp_gt_i64_e32 vcc, 0, v[27:28]
	v_not_b32_e32 v20, v28
	v_ashrrev_i32_e32 v20, 31, v20
	v_and_b32_e32 v19, exec_lo, v19
	v_xor_b32_e32 v22, vcc_hi, v20
	v_xor_b32_e32 v20, vcc_lo, v20
	v_lshlrev_b32_e32 v28, 29, v1
	v_and_b32_e32 v19, v19, v20
	v_cmp_gt_i64_e32 vcc, 0, v[27:28]
	v_not_b32_e32 v20, v28
	v_and_b32_e32 v2, exec_hi, v2
	v_ashrrev_i32_e32 v20, 31, v20
	v_and_b32_e32 v2, v2, v22
	v_xor_b32_e32 v22, vcc_hi, v20
	v_xor_b32_e32 v20, vcc_lo, v20
	v_lshlrev_b32_e32 v28, 28, v1
	v_and_b32_e32 v19, v19, v20
	v_cmp_gt_i64_e32 vcc, 0, v[27:28]
	v_not_b32_e32 v20, v28
	v_ashrrev_i32_e32 v20, 31, v20
	v_and_b32_e32 v2, v2, v22
	v_xor_b32_e32 v22, vcc_hi, v20
	v_xor_b32_e32 v20, vcc_lo, v20
	v_lshlrev_b32_e32 v28, 27, v1
	v_and_b32_e32 v19, v19, v20
	v_cmp_gt_i64_e32 vcc, 0, v[27:28]
	v_not_b32_e32 v20, v28
	;; [unrolled: 8-line block ×4, first 2 shown]
	v_ashrrev_i32_e32 v20, 31, v20
	v_lshlrev_b32_e32 v28, 24, v1
	v_lshl_add_u32 v21, v1, 2, v32
	v_and_b32_e32 v2, v2, v22
	v_xor_b32_e32 v22, vcc_hi, v20
	v_xor_b32_e32 v20, vcc_lo, v20
	v_cmp_gt_i64_e32 vcc, 0, v[27:28]
	v_not_b32_e32 v1, v28
	v_ashrrev_i32_e32 v1, 31, v1
	v_and_b32_e32 v19, v19, v20
	v_xor_b32_e32 v20, vcc_hi, v1
	v_xor_b32_e32 v1, vcc_lo, v1
	v_and_b32_e32 v2, v2, v22
	v_and_b32_e32 v1, v19, v1
	;; [unrolled: 1-line block ×3, first 2 shown]
	v_mbcnt_lo_u32_b32 v19, v1, 0
	v_mbcnt_hi_u32_b32 v22, v2, v19
	v_cmp_ne_u64_e32 vcc, 0, v[1:2]
	v_mov_b32_e32 v13, v25
	v_mov_b32_e32 v11, v23
	v_cmp_eq_u32_e64 s[14:15], 0, v22
	v_mov_b32_e32 v14, v26
	v_mov_b32_e32 v12, v24
	s_and_b64 s[24:25], vcc, s[14:15]
	ds_write2_b32 v29, v27, v27 offset0:1 offset1:2
	ds_write2_b32 v29, v27, v27 offset0:3 offset1:4
	s_waitcnt lgkmcnt(0)
	; wave barrier
	; wave barrier
	s_and_saveexec_b64 s[14:15], s[24:25]
; %bb.4:                                ;   in Loop: Header=BB55_3 Depth=1
	v_bcnt_u32_b32 v1, v1, 0
	v_bcnt_u32_b32 v1, v2, v1
	ds_write_b32 v21, v1 offset:4
; %bb.5:                                ;   in Loop: Header=BB55_3 Depth=1
	s_or_b64 exec, exec, s[14:15]
	; wave barrier
	s_waitcnt lgkmcnt(0)
	; wave barrier
	ds_read2_b32 v[19:20], v29 offset0:1 offset1:2
	ds_read2_b32 v[1:2], v29 offset0:3 offset1:4
	s_waitcnt lgkmcnt(1)
	v_add_u32_e32 v23, v20, v19
	s_waitcnt lgkmcnt(0)
	v_add3_u32 v2, v23, v1, v2
	s_nop 1
	v_mov_b32_dpp v23, v2 row_shr:1 row_mask:0xf bank_mask:0xf
	v_cndmask_b32_e64 v23, v23, 0, s[4:5]
	v_add_u32_e32 v2, v23, v2
	s_nop 1
	v_mov_b32_dpp v23, v2 row_shr:2 row_mask:0xf bank_mask:0xf
	v_cndmask_b32_e64 v23, 0, v23, s[6:7]
	v_add_u32_e32 v2, v2, v23
	;; [unrolled: 4-line block ×4, first 2 shown]
	s_nop 1
	v_mov_b32_dpp v23, v2 row_bcast:15 row_mask:0xf bank_mask:0xf
	v_cndmask_b32_e64 v23, v23, 0, s[12:13]
	v_add_u32_e32 v2, v2, v23
	s_nop 1
	v_mov_b32_dpp v23, v2 row_bcast:31 row_mask:0xf bank_mask:0xf
	v_cndmask_b32_e64 v23, 0, v23, s[2:3]
	v_add_u32_e32 v2, v2, v23
	s_and_saveexec_b64 s[14:15], s[0:1]
; %bb.6:                                ;   in Loop: Header=BB55_3 Depth=1
	ds_write_b32 v27, v2
; %bb.7:                                ;   in Loop: Header=BB55_3 Depth=1
	s_or_b64 exec, exec, s[14:15]
	ds_bpermute_b32 v2, v31, v2
	s_waitcnt lgkmcnt(0)
	; wave barrier
	s_add_i32 s22, s22, 8
	s_cmp_ge_u32 s22, s23
	v_cndmask_b32_e64 v2, v2, 0, s[16:17]
	v_add_u32_e32 v19, v2, v19
	v_add_u32_e32 v20, v19, v20
	;; [unrolled: 1-line block ×3, first 2 shown]
	ds_write2_b32 v29, v2, v19 offset0:1 offset1:2
	ds_write2_b32 v29, v20, v1 offset0:3 offset1:4
	s_waitcnt lgkmcnt(0)
	; wave barrier
	ds_read_b32 v1, v21 offset:4
	v_lshlrev_b32_e32 v2, 4, v22
	s_mov_b64 s[14:15], -1
	s_waitcnt lgkmcnt(0)
                                        ; implicit-def: $vgpr19_vgpr20
                                        ; implicit-def: $vgpr23_vgpr24
	v_lshl_add_u32 v1, v1, 4, v2
	s_cbranch_scc1 .LBB55_2
; %bb.8:                                ;   in Loop: Header=BB55_3 Depth=1
	; wave barrier
	ds_write_b128 v1, v[15:18]
	s_waitcnt lgkmcnt(0)
	; wave barrier
	ds_read_b128 v[19:22], v30
	s_waitcnt lgkmcnt(0)
	; wave barrier
	ds_write_b128 v1, v[11:14]
	s_waitcnt lgkmcnt(0)
	; wave barrier
	ds_read_b128 v[23:26], v30
	s_add_i32 s19, s19, -8
	s_mov_b64 s[14:15], 0
	s_waitcnt lgkmcnt(0)
	; wave barrier
	s_branch .LBB55_2
.LBB55_9:
	s_mov_b64 s[14:15], -1
                                        ; implicit-def: $vgpr2
                                        ; implicit-def: $vgpr15_vgpr16
	s_branch .LBB55_11
.LBB55_10:
	v_lshlrev_b32_e32 v2, 4, v0
	; wave barrier
	ds_write_b128 v1, v[15:18]
	s_waitcnt lgkmcnt(0)
	; wave barrier
	ds_read_b128 v[15:18], v2
	s_waitcnt lgkmcnt(0)
	; wave barrier
	ds_write_b128 v1, v[11:14]
	s_waitcnt lgkmcnt(0)
	; wave barrier
	s_mov_b64 s[14:15], 0
.LBB55_11:
	v_add_co_u32_e32 v0, vcc, s18, v29
	v_addc_co_u32_e32 v1, vcc, 0, v34, vcc
	v_add_co_u32_e32 v19, vcc, s20, v29
	v_addc_co_u32_e32 v20, vcc, 0, v33, vcc
	s_and_b64 vcc, exec, s[14:15]
	s_cbranch_vccz .LBB55_21
; %bb.12:
	s_mov_b32 s18, 0
	v_mov_b32_e32 v2, 0
	s_branch .LBB55_14
.LBB55_13:                              ;   in Loop: Header=BB55_14 Depth=1
	s_andn2_b64 vcc, exec, s[14:15]
	s_cbranch_vccz .LBB55_20
.LBB55_14:                              ; =>This Inner Loop Header: Depth=1
	v_mov_b32_e32 v16, v4
	v_mov_b32_e32 v18, v6
	;; [unrolled: 1-line block ×4, first 2 shown]
	v_lshrrev_b64 v[3:4], s18, v[15:16]
	s_sub_i32 s14, 64, s18
	v_lshlrev_b64 v[4:5], s14, v[17:18]
	s_sub_i32 s14, s18, 64
	v_or_b32_e32 v5, v3, v4
	v_lshrrev_b64 v[3:4], s14, v[17:18]
	s_cmp_lt_u32 s18, 64
	s_cselect_b64 vcc, -1, 0
	s_cmp_eq_u32 s18, 0
	v_cndmask_b32_e32 v3, v3, v5, vcc
	s_cselect_b64 vcc, -1, 0
	v_cndmask_b32_e32 v4, v3, v15, vcc
	s_waitcnt vmcnt(0)
	v_mov_b32_e32 v12, v8
	v_and_b32_e32 v3, 0xff, v4
	v_mov_b32_e32 v11, v7
	v_lshl_add_u32 v7, v3, 2, v32
	v_and_b32_e32 v3, 1, v4
	v_add_co_u32_e32 v5, vcc, -1, v3
	v_addc_co_u32_e64 v6, s[14:15], 0, -1, vcc
	v_cmp_ne_u32_e32 vcc, 0, v3
	v_xor_b32_e32 v3, vcc_hi, v6
	v_and_b32_e32 v6, exec_hi, v3
	v_lshlrev_b32_e32 v3, 30, v4
	v_xor_b32_e32 v5, vcc_lo, v5
	v_cmp_gt_i64_e32 vcc, 0, v[2:3]
	v_not_b32_e32 v3, v3
	v_ashrrev_i32_e32 v3, 31, v3
	v_and_b32_e32 v5, exec_lo, v5
	v_xor_b32_e32 v8, vcc_hi, v3
	v_xor_b32_e32 v3, vcc_lo, v3
	v_and_b32_e32 v5, v5, v3
	v_lshlrev_b32_e32 v3, 29, v4
	v_cmp_gt_i64_e32 vcc, 0, v[2:3]
	v_not_b32_e32 v3, v3
	v_ashrrev_i32_e32 v3, 31, v3
	v_and_b32_e32 v6, v6, v8
	v_xor_b32_e32 v8, vcc_hi, v3
	v_xor_b32_e32 v3, vcc_lo, v3
	v_and_b32_e32 v5, v5, v3
	v_lshlrev_b32_e32 v3, 28, v4
	v_cmp_gt_i64_e32 vcc, 0, v[2:3]
	v_not_b32_e32 v3, v3
	v_ashrrev_i32_e32 v3, 31, v3
	v_and_b32_e32 v6, v6, v8
	;; [unrolled: 8-line block ×5, first 2 shown]
	v_xor_b32_e32 v8, vcc_hi, v3
	v_xor_b32_e32 v3, vcc_lo, v3
	v_and_b32_e32 v5, v5, v3
	v_lshlrev_b32_e32 v3, 24, v4
	v_cmp_gt_i64_e32 vcc, 0, v[2:3]
	v_not_b32_e32 v3, v3
	v_ashrrev_i32_e32 v3, 31, v3
	v_xor_b32_e32 v4, vcc_hi, v3
	v_xor_b32_e32 v3, vcc_lo, v3
	v_and_b32_e32 v6, v6, v8
	v_and_b32_e32 v3, v5, v3
	;; [unrolled: 1-line block ×3, first 2 shown]
	v_mbcnt_lo_u32_b32 v5, v3, 0
	v_mbcnt_hi_u32_b32 v8, v4, v5
	v_cmp_ne_u64_e32 vcc, 0, v[3:4]
	v_mov_b32_e32 v14, v10
	v_cmp_eq_u32_e64 s[14:15], 0, v8
	v_mov_b32_e32 v13, v9
	s_and_b64 s[20:21], vcc, s[14:15]
	ds_write2_b32 v29, v2, v2 offset0:1 offset1:2
	ds_write2_b32 v29, v2, v2 offset0:3 offset1:4
	s_waitcnt lgkmcnt(0)
	; wave barrier
	; wave barrier
	s_and_saveexec_b64 s[14:15], s[20:21]
; %bb.15:                               ;   in Loop: Header=BB55_14 Depth=1
	v_bcnt_u32_b32 v3, v3, 0
	v_bcnt_u32_b32 v3, v4, v3
	ds_write_b32 v7, v3 offset:4
; %bb.16:                               ;   in Loop: Header=BB55_14 Depth=1
	s_or_b64 exec, exec, s[14:15]
	; wave barrier
	s_waitcnt lgkmcnt(0)
	; wave barrier
	ds_read2_b32 v[5:6], v29 offset0:1 offset1:2
	ds_read2_b32 v[3:4], v29 offset0:3 offset1:4
	s_waitcnt lgkmcnt(1)
	v_add_u32_e32 v9, v6, v5
	s_waitcnt lgkmcnt(0)
	v_add3_u32 v4, v9, v3, v4
	s_nop 1
	v_mov_b32_dpp v9, v4 row_shr:1 row_mask:0xf bank_mask:0xf
	v_cndmask_b32_e64 v9, v9, 0, s[4:5]
	v_add_u32_e32 v4, v9, v4
	s_nop 1
	v_mov_b32_dpp v9, v4 row_shr:2 row_mask:0xf bank_mask:0xf
	v_cndmask_b32_e64 v9, 0, v9, s[6:7]
	v_add_u32_e32 v4, v4, v9
	;; [unrolled: 4-line block ×4, first 2 shown]
	s_nop 1
	v_mov_b32_dpp v9, v4 row_bcast:15 row_mask:0xf bank_mask:0xf
	v_cndmask_b32_e64 v9, v9, 0, s[12:13]
	v_add_u32_e32 v4, v4, v9
	s_nop 1
	v_mov_b32_dpp v9, v4 row_bcast:31 row_mask:0xf bank_mask:0xf
	v_cndmask_b32_e64 v9, 0, v9, s[2:3]
	v_add_u32_e32 v4, v4, v9
	s_and_saveexec_b64 s[14:15], s[0:1]
; %bb.17:                               ;   in Loop: Header=BB55_14 Depth=1
	ds_write_b32 v2, v4
; %bb.18:                               ;   in Loop: Header=BB55_14 Depth=1
	s_or_b64 exec, exec, s[14:15]
	ds_bpermute_b32 v4, v31, v4
	s_waitcnt lgkmcnt(0)
	; wave barrier
	s_cmpk_gt_u32 s18, 0x77
	s_mov_b64 s[14:15], -1
	v_cndmask_b32_e64 v4, v4, 0, s[16:17]
	v_add_u32_e32 v5, v4, v5
	v_add_u32_e32 v6, v5, v6
	;; [unrolled: 1-line block ×3, first 2 shown]
	ds_write2_b32 v29, v4, v5 offset0:1 offset1:2
	ds_write2_b32 v29, v6, v3 offset0:3 offset1:4
	s_waitcnt lgkmcnt(0)
	; wave barrier
	ds_read_b32 v3, v7 offset:4
	s_waitcnt lgkmcnt(0)
	v_add_u32_e32 v21, v3, v8
                                        ; implicit-def: $vgpr3_vgpr4
                                        ; implicit-def: $vgpr7_vgpr8
	s_cbranch_scc1 .LBB55_13
; %bb.19:                               ;   in Loop: Header=BB55_14 Depth=1
	v_lshlrev_b32_e32 v7, 4, v21
	; wave barrier
	ds_write_b128 v7, v[15:18]
	s_waitcnt lgkmcnt(0)
	; wave barrier
	ds_read_b128 v[3:6], v30
	s_waitcnt lgkmcnt(0)
	; wave barrier
	ds_write_b128 v7, v[11:14]
	s_waitcnt lgkmcnt(0)
	; wave barrier
	ds_read_b128 v[7:10], v30
	s_add_i32 s18, s18, 8
	s_mov_b64 s[14:15], 0
	s_waitcnt lgkmcnt(0)
	; wave barrier
	s_branch .LBB55_13
.LBB55_20:
	v_lshlrev_b32_e32 v2, 4, v21
	; wave barrier
	ds_write_b128 v2, v[15:18]
	s_waitcnt lgkmcnt(0)
	; wave barrier
	ds_read_b128 v[15:18], v29
	s_waitcnt lgkmcnt(0)
	; wave barrier
	ds_write_b128 v2, v[11:14]
	v_mov_b32_e32 v2, v29
	s_waitcnt lgkmcnt(0)
	; wave barrier
.LBB55_21:
	ds_read_b128 v[2:5], v2
	v_xor_b32_e32 v18, 0x80000000, v18
	global_store_dwordx4 v[0:1], v[15:18], off
	s_waitcnt lgkmcnt(0)
	global_store_dwordx4 v[19:20], v[2:5], off
	s_endpgm
	.section	.rodata,"a",@progbits
	.p2align	6, 0x0
	.amdhsa_kernel _Z21sort_key_value_kernelILj64ELj1ELb0ELb0EnnEvPT3_PT4_jj
		.amdhsa_group_segment_fixed_size 1040
		.amdhsa_private_segment_fixed_size 0
		.amdhsa_kernarg_size 280
		.amdhsa_user_sgpr_count 6
		.amdhsa_user_sgpr_private_segment_buffer 1
		.amdhsa_user_sgpr_dispatch_ptr 0
		.amdhsa_user_sgpr_queue_ptr 0
		.amdhsa_user_sgpr_kernarg_segment_ptr 1
		.amdhsa_user_sgpr_dispatch_id 0
		.amdhsa_user_sgpr_flat_scratch_init 0
		.amdhsa_user_sgpr_private_segment_size 0
		.amdhsa_uses_dynamic_stack 0
		.amdhsa_system_sgpr_private_segment_wavefront_offset 0
		.amdhsa_system_sgpr_workgroup_id_x 1
		.amdhsa_system_sgpr_workgroup_id_y 0
		.amdhsa_system_sgpr_workgroup_id_z 0
		.amdhsa_system_sgpr_workgroup_info 0
		.amdhsa_system_vgpr_workitem_id 2
		.amdhsa_next_free_vgpr 35
		.amdhsa_next_free_sgpr 29
		.amdhsa_reserve_vcc 1
		.amdhsa_reserve_flat_scratch 0
		.amdhsa_float_round_mode_32 0
		.amdhsa_float_round_mode_16_64 0
		.amdhsa_float_denorm_mode_32 3
		.amdhsa_float_denorm_mode_16_64 3
		.amdhsa_dx10_clamp 1
		.amdhsa_ieee_mode 1
		.amdhsa_fp16_overflow 0
		.amdhsa_exception_fp_ieee_invalid_op 0
		.amdhsa_exception_fp_denorm_src 0
		.amdhsa_exception_fp_ieee_div_zero 0
		.amdhsa_exception_fp_ieee_overflow 0
		.amdhsa_exception_fp_ieee_underflow 0
		.amdhsa_exception_fp_ieee_inexact 0
		.amdhsa_exception_int_div_zero 0
	.end_amdhsa_kernel
	.section	.text._Z21sort_key_value_kernelILj64ELj1ELb0ELb0EnnEvPT3_PT4_jj,"axG",@progbits,_Z21sort_key_value_kernelILj64ELj1ELb0ELb0EnnEvPT3_PT4_jj,comdat
.Lfunc_end55:
	.size	_Z21sort_key_value_kernelILj64ELj1ELb0ELb0EnnEvPT3_PT4_jj, .Lfunc_end55-_Z21sort_key_value_kernelILj64ELj1ELb0ELb0EnnEvPT3_PT4_jj
                                        ; -- End function
	.set _Z21sort_key_value_kernelILj64ELj1ELb0ELb0EnnEvPT3_PT4_jj.num_vgpr, 35
	.set _Z21sort_key_value_kernelILj64ELj1ELb0ELb0EnnEvPT3_PT4_jj.num_agpr, 0
	.set _Z21sort_key_value_kernelILj64ELj1ELb0ELb0EnnEvPT3_PT4_jj.numbered_sgpr, 29
	.set _Z21sort_key_value_kernelILj64ELj1ELb0ELb0EnnEvPT3_PT4_jj.num_named_barrier, 0
	.set _Z21sort_key_value_kernelILj64ELj1ELb0ELb0EnnEvPT3_PT4_jj.private_seg_size, 0
	.set _Z21sort_key_value_kernelILj64ELj1ELb0ELb0EnnEvPT3_PT4_jj.uses_vcc, 1
	.set _Z21sort_key_value_kernelILj64ELj1ELb0ELb0EnnEvPT3_PT4_jj.uses_flat_scratch, 0
	.set _Z21sort_key_value_kernelILj64ELj1ELb0ELb0EnnEvPT3_PT4_jj.has_dyn_sized_stack, 0
	.set _Z21sort_key_value_kernelILj64ELj1ELb0ELb0EnnEvPT3_PT4_jj.has_recursion, 0
	.set _Z21sort_key_value_kernelILj64ELj1ELb0ELb0EnnEvPT3_PT4_jj.has_indirect_call, 0
	.section	.AMDGPU.csdata,"",@progbits
; Kernel info:
; codeLenInByte = 2136
; TotalNumSgprs: 33
; NumVgprs: 35
; ScratchSize: 0
; MemoryBound: 0
; FloatMode: 240
; IeeeMode: 1
; LDSByteSize: 1040 bytes/workgroup (compile time only)
; SGPRBlocks: 4
; VGPRBlocks: 8
; NumSGPRsForWavesPerEU: 33
; NumVGPRsForWavesPerEU: 35
; Occupancy: 7
; WaveLimiterHint : 0
; COMPUTE_PGM_RSRC2:SCRATCH_EN: 0
; COMPUTE_PGM_RSRC2:USER_SGPR: 6
; COMPUTE_PGM_RSRC2:TRAP_HANDLER: 0
; COMPUTE_PGM_RSRC2:TGID_X_EN: 1
; COMPUTE_PGM_RSRC2:TGID_Y_EN: 0
; COMPUTE_PGM_RSRC2:TGID_Z_EN: 0
; COMPUTE_PGM_RSRC2:TIDIG_COMP_CNT: 2
	.section	.AMDGPU.gpr_maximums,"",@progbits
	.set amdgpu.max_num_vgpr, 0
	.set amdgpu.max_num_agpr, 0
	.set amdgpu.max_num_sgpr, 0
	.section	.AMDGPU.csdata,"",@progbits
	.type	__hip_cuid_af3379865821d702,@object ; @__hip_cuid_af3379865821d702
	.section	.bss,"aw",@nobits
	.globl	__hip_cuid_af3379865821d702
__hip_cuid_af3379865821d702:
	.byte	0                               ; 0x0
	.size	__hip_cuid_af3379865821d702, 1

	.ident	"AMD clang version 22.0.0git (https://github.com/RadeonOpenCompute/llvm-project roc-7.2.4 26084 f58b06dce1f9c15707c5f808fd002e18c2accf7e)"
	.section	".note.GNU-stack","",@progbits
	.addrsig
	.addrsig_sym __hip_cuid_af3379865821d702
	.amdgpu_metadata
---
amdhsa.kernels:
  - .args:
      - .address_space:  global
        .offset:         0
        .size:           8
        .value_kind:     global_buffer
      - .offset:         8
        .size:           4
        .value_kind:     by_value
      - .offset:         12
        .size:           4
        .value_kind:     by_value
    .group_segment_fixed_size: 8176
    .kernarg_segment_align: 8
    .kernarg_segment_size: 16
    .language:       OpenCL C
    .language_version:
      - 2
      - 0
    .max_flat_workgroup_size: 255
    .name:           _Z15sort_key_kernelILj255ELj1ELb1ELb0EN10test_utils16custom_test_typeIhEEEvPT3_jj
    .private_segment_fixed_size: 0
    .sgpr_count:     55
    .sgpr_spill_count: 0
    .symbol:         _Z15sort_key_kernelILj255ELj1ELb1ELb0EN10test_utils16custom_test_typeIhEEEvPT3_jj.kd
    .uniform_work_group_size: 1
    .uses_dynamic_stack: false
    .vgpr_count:     31
    .vgpr_spill_count: 0
    .wavefront_size: 64
  - .args:
      - .address_space:  global
        .offset:         0
        .size:           8
        .value_kind:     global_buffer
      - .offset:         8
        .size:           4
        .value_kind:     by_value
      - .offset:         12
        .size:           4
        .value_kind:     by_value
    .group_segment_fixed_size: 4144
    .kernarg_segment_align: 8
    .kernarg_segment_size: 16
    .language:       OpenCL C
    .language_version:
      - 2
      - 0
    .max_flat_workgroup_size: 129
    .name:           _Z15sort_key_kernelILj129ELj2ELb0ELb1EN10test_utils16custom_test_typeIfEEEvPT3_jj
    .private_segment_fixed_size: 0
    .sgpr_count:     57
    .sgpr_spill_count: 0
    .symbol:         _Z15sort_key_kernelILj129ELj2ELb0ELb1EN10test_utils16custom_test_typeIfEEEvPT3_jj.kd
    .uniform_work_group_size: 1
    .uses_dynamic_stack: false
    .vgpr_count:     33
    .vgpr_spill_count: 0
    .wavefront_size: 64
  - .args:
      - .address_space:  global
        .offset:         0
        .size:           8
        .value_kind:     global_buffer
      - .offset:         8
        .size:           4
        .value_kind:     by_value
      - .offset:         12
        .size:           4
        .value_kind:     by_value
      - .offset:         16
        .size:           4
        .value_kind:     hidden_block_count_x
      - .offset:         20
        .size:           4
        .value_kind:     hidden_block_count_y
      - .offset:         24
        .size:           4
        .value_kind:     hidden_block_count_z
      - .offset:         28
        .size:           2
        .value_kind:     hidden_group_size_x
      - .offset:         30
        .size:           2
        .value_kind:     hidden_group_size_y
      - .offset:         32
        .size:           2
        .value_kind:     hidden_group_size_z
      - .offset:         34
        .size:           2
        .value_kind:     hidden_remainder_x
      - .offset:         36
        .size:           2
        .value_kind:     hidden_remainder_y
      - .offset:         38
        .size:           2
        .value_kind:     hidden_remainder_z
      - .offset:         56
        .size:           8
        .value_kind:     hidden_global_offset_x
      - .offset:         64
        .size:           8
        .value_kind:     hidden_global_offset_y
      - .offset:         72
        .size:           8
        .value_kind:     hidden_global_offset_z
      - .offset:         80
        .size:           2
        .value_kind:     hidden_grid_dims
    .group_segment_fixed_size: 2064
    .kernarg_segment_align: 8
    .kernarg_segment_size: 272
    .language:       OpenCL C
    .language_version:
      - 2
      - 0
    .max_flat_workgroup_size: 128
    .name:           _Z15sort_key_kernelILj128ELj4ELb0ELb0EN10test_utils16custom_test_typeIsEEEvPT3_jj
    .private_segment_fixed_size: 0
    .sgpr_count:     59
    .sgpr_spill_count: 0
    .symbol:         _Z15sort_key_kernelILj128ELj4ELb0ELb0EN10test_utils16custom_test_typeIsEEEvPT3_jj.kd
    .uniform_work_group_size: 1
    .uses_dynamic_stack: false
    .vgpr_count:     50
    .vgpr_spill_count: 0
    .wavefront_size: 64
  - .args:
      - .address_space:  global
        .offset:         0
        .size:           8
        .value_kind:     global_buffer
      - .offset:         8
        .size:           4
        .value_kind:     by_value
      - .offset:         12
        .size:           4
        .value_kind:     by_value
    .group_segment_fixed_size: 1936
    .kernarg_segment_align: 8
    .kernarg_segment_size: 16
    .language:       OpenCL C
    .language_version:
      - 2
      - 0
    .max_flat_workgroup_size: 60
    .name:           _Z15sort_key_kernelILj60ELj1ELb0ELb1EtEvPT3_jj
    .private_segment_fixed_size: 0
    .sgpr_count:     44
    .sgpr_spill_count: 0
    .symbol:         _Z15sort_key_kernelILj60ELj1ELb0ELb1EtEvPT3_jj.kd
    .uniform_work_group_size: 1
    .uses_dynamic_stack: false
    .vgpr_count:     24
    .vgpr_spill_count: 0
    .wavefront_size: 64
  - .args:
      - .address_space:  global
        .offset:         0
        .size:           8
        .value_kind:     global_buffer
      - .offset:         8
        .size:           4
        .value_kind:     by_value
      - .offset:         12
        .size:           4
        .value_kind:     by_value
      - .offset:         16
        .size:           4
        .value_kind:     hidden_block_count_x
      - .offset:         20
        .size:           4
        .value_kind:     hidden_block_count_y
      - .offset:         24
        .size:           4
        .value_kind:     hidden_block_count_z
      - .offset:         28
        .size:           2
        .value_kind:     hidden_group_size_x
      - .offset:         30
        .size:           2
        .value_kind:     hidden_group_size_y
      - .offset:         32
        .size:           2
        .value_kind:     hidden_group_size_z
      - .offset:         34
        .size:           2
        .value_kind:     hidden_remainder_x
      - .offset:         36
        .size:           2
        .value_kind:     hidden_remainder_y
      - .offset:         38
        .size:           2
        .value_kind:     hidden_remainder_z
      - .offset:         56
        .size:           8
        .value_kind:     hidden_global_offset_x
      - .offset:         64
        .size:           8
        .value_kind:     hidden_global_offset_y
      - .offset:         72
        .size:           8
        .value_kind:     hidden_global_offset_z
      - .offset:         80
        .size:           2
        .value_kind:     hidden_grid_dims
    .group_segment_fixed_size: 8224
    .kernarg_segment_align: 8
    .kernarg_segment_size: 272
    .language:       OpenCL C
    .language_version:
      - 2
      - 0
    .max_flat_workgroup_size: 512
    .name:           _Z15sort_key_kernelILj512ELj2ELb1ELb0EhEvPT3_jj
    .private_segment_fixed_size: 0
    .sgpr_count:     48
    .sgpr_spill_count: 0
    .symbol:         _Z15sort_key_kernelILj512ELj2ELb1ELb0EhEvPT3_jj.kd
    .uniform_work_group_size: 1
    .uses_dynamic_stack: false
    .vgpr_count:     35
    .vgpr_spill_count: 0
    .wavefront_size: 64
  - .args:
      - .address_space:  global
        .offset:         0
        .size:           8
        .value_kind:     global_buffer
      - .offset:         8
        .size:           4
        .value_kind:     by_value
      - .offset:         12
        .size:           4
        .value_kind:     by_value
    .group_segment_fixed_size: 5200
    .kernarg_segment_align: 8
    .kernarg_segment_size: 16
    .language:       OpenCL C
    .language_version:
      - 2
      - 0
    .max_flat_workgroup_size: 162
    .name:           _Z15sort_key_kernelILj162ELj2ELb1ELb1EjEvPT3_jj
    .private_segment_fixed_size: 0
    .sgpr_count:     50
    .sgpr_spill_count: 0
    .symbol:         _Z15sort_key_kernelILj162ELj2ELb1ELb1EjEvPT3_jj.kd
    .uniform_work_group_size: 1
    .uses_dynamic_stack: false
    .vgpr_count:     27
    .vgpr_spill_count: 0
    .wavefront_size: 64
  - .args:
      - .address_space:  global
        .offset:         0
        .size:           8
        .value_kind:     global_buffer
      - .offset:         8
        .size:           4
        .value_kind:     by_value
      - .offset:         12
        .size:           4
        .value_kind:     by_value
    .group_segment_fixed_size: 3280
    .kernarg_segment_align: 8
    .kernarg_segment_size: 16
    .language:       OpenCL C
    .language_version:
      - 2
      - 0
    .max_flat_workgroup_size: 102
    .name:           _Z15sort_key_kernelILj102ELj3ELb0ELb1EtEvPT3_jj
    .private_segment_fixed_size: 0
    .sgpr_count:     49
    .sgpr_spill_count: 0
    .symbol:         _Z15sort_key_kernelILj102ELj3ELb0ELb1EtEvPT3_jj.kd
    .uniform_work_group_size: 1
    .uses_dynamic_stack: false
    .vgpr_count:     34
    .vgpr_spill_count: 0
    .wavefront_size: 64
  - .args:
      - .address_space:  global
        .offset:         0
        .size:           8
        .value_kind:     global_buffer
      - .offset:         8
        .size:           4
        .value_kind:     by_value
      - .offset:         12
        .size:           4
        .value_kind:     by_value
      - .offset:         16
        .size:           4
        .value_kind:     hidden_block_count_x
      - .offset:         20
        .size:           4
        .value_kind:     hidden_block_count_y
      - .offset:         24
        .size:           4
        .value_kind:     hidden_block_count_z
      - .offset:         28
        .size:           2
        .value_kind:     hidden_group_size_x
      - .offset:         30
        .size:           2
        .value_kind:     hidden_group_size_y
      - .offset:         32
        .size:           2
        .value_kind:     hidden_group_size_z
      - .offset:         34
        .size:           2
        .value_kind:     hidden_remainder_x
      - .offset:         36
        .size:           2
        .value_kind:     hidden_remainder_y
      - .offset:         38
        .size:           2
        .value_kind:     hidden_remainder_z
      - .offset:         56
        .size:           8
        .value_kind:     hidden_global_offset_x
      - .offset:         64
        .size:           8
        .value_kind:     hidden_global_offset_y
      - .offset:         72
        .size:           8
        .value_kind:     hidden_global_offset_z
      - .offset:         80
        .size:           2
        .value_kind:     hidden_grid_dims
    .group_segment_fixed_size: 1040
    .kernarg_segment_align: 8
    .kernarg_segment_size: 272
    .language:       OpenCL C
    .language_version:
      - 2
      - 0
    .max_flat_workgroup_size: 64
    .name:           _Z15sort_key_kernelILj64ELj1ELb0ELb0EyEvPT3_jj
    .private_segment_fixed_size: 0
    .sgpr_count:     28
    .sgpr_spill_count: 0
    .symbol:         _Z15sort_key_kernelILj64ELj1ELb0ELb0EyEvPT3_jj.kd
    .uniform_work_group_size: 1
    .uses_dynamic_stack: false
    .vgpr_count:     19
    .vgpr_spill_count: 0
    .wavefront_size: 64
  - .args:
      - .address_space:  global
        .offset:         0
        .size:           8
        .value_kind:     global_buffer
      - .offset:         8
        .size:           4
        .value_kind:     by_value
      - .offset:         12
        .size:           4
        .value_kind:     by_value
    .group_segment_fixed_size: 7504
    .kernarg_segment_align: 8
    .kernarg_segment_size: 16
    .language:       OpenCL C
    .language_version:
      - 2
      - 0
    .max_flat_workgroup_size: 234
    .name:           _Z15sort_key_kernelILj234ELj9ELb0ELb0EsEvPT3_jj
    .private_segment_fixed_size: 0
    .sgpr_count:     44
    .sgpr_spill_count: 0
    .symbol:         _Z15sort_key_kernelILj234ELj9ELb0ELb0EsEvPT3_jj.kd
    .uniform_work_group_size: 1
    .uses_dynamic_stack: false
    .vgpr_count:     58
    .vgpr_spill_count: 0
    .wavefront_size: 64
  - .args:
      - .address_space:  global
        .offset:         0
        .size:           8
        .value_kind:     global_buffer
      - .offset:         8
        .size:           4
        .value_kind:     by_value
      - .offset:         12
        .size:           4
        .value_kind:     by_value
    .group_segment_fixed_size: 3216
    .kernarg_segment_align: 8
    .kernarg_segment_size: 16
    .language:       OpenCL C
    .language_version:
      - 2
      - 0
    .max_flat_workgroup_size: 100
    .name:           _Z15sort_key_kernelILj100ELj3ELb0ELb0EtEvPT3_jj
    .private_segment_fixed_size: 0
    .sgpr_count:     49
    .sgpr_spill_count: 0
    .symbol:         _Z15sort_key_kernelILj100ELj3ELb0ELb0EtEvPT3_jj.kd
    .uniform_work_group_size: 1
    .uses_dynamic_stack: false
    .vgpr_count:     34
    .vgpr_spill_count: 0
    .wavefront_size: 64
  - .args:
      - .address_space:  global
        .offset:         0
        .size:           8
        .value_kind:     global_buffer
      - .offset:         8
        .size:           4
        .value_kind:     by_value
      - .offset:         12
        .size:           4
        .value_kind:     by_value
    .group_segment_fixed_size: 14880
    .kernarg_segment_align: 8
    .kernarg_segment_size: 16
    .language:       OpenCL C
    .language_version:
      - 2
      - 0
    .max_flat_workgroup_size: 464
    .name:           _Z15sort_key_kernelILj464ELj2ELb1ELb1EcEvPT3_jj
    .private_segment_fixed_size: 0
    .sgpr_count:     44
    .sgpr_spill_count: 0
    .symbol:         _Z15sort_key_kernelILj464ELj2ELb1ELb1EcEvPT3_jj.kd
    .uniform_work_group_size: 1
    .uses_dynamic_stack: false
    .vgpr_count:     29
    .vgpr_spill_count: 0
    .wavefront_size: 64
  - .args:
      - .address_space:  global
        .offset:         0
        .size:           8
        .value_kind:     global_buffer
      - .offset:         8
        .size:           4
        .value_kind:     by_value
      - .offset:         12
        .size:           4
        .value_kind:     by_value
    .group_segment_fixed_size: 1328
    .kernarg_segment_align: 8
    .kernarg_segment_size: 16
    .language:       OpenCL C
    .language_version:
      - 2
      - 0
    .max_flat_workgroup_size: 33
    .name:           _Z15sort_key_kernelILj33ELj5ELb0ELb0EdEvPT3_jj
    .private_segment_fixed_size: 0
    .sgpr_count:     44
    .sgpr_spill_count: 0
    .symbol:         _Z15sort_key_kernelILj33ELj5ELb0ELb0EdEvPT3_jj.kd
    .uniform_work_group_size: 1
    .uses_dynamic_stack: false
    .vgpr_count:     50
    .vgpr_spill_count: 0
    .wavefront_size: 64
  - .args:
      - .address_space:  global
        .offset:         0
        .size:           8
        .value_kind:     global_buffer
      - .offset:         8
        .size:           4
        .value_kind:     by_value
      - .offset:         12
        .size:           4
        .value_kind:     by_value
      - .offset:         16
        .size:           4
        .value_kind:     hidden_block_count_x
      - .offset:         20
        .size:           4
        .value_kind:     hidden_block_count_y
      - .offset:         24
        .size:           4
        .value_kind:     hidden_block_count_z
      - .offset:         28
        .size:           2
        .value_kind:     hidden_group_size_x
      - .offset:         30
        .size:           2
        .value_kind:     hidden_group_size_y
      - .offset:         32
        .size:           2
        .value_kind:     hidden_group_size_z
      - .offset:         34
        .size:           2
        .value_kind:     hidden_remainder_x
      - .offset:         36
        .size:           2
        .value_kind:     hidden_remainder_y
      - .offset:         38
        .size:           2
        .value_kind:     hidden_remainder_z
      - .offset:         56
        .size:           8
        .value_kind:     hidden_global_offset_x
      - .offset:         64
        .size:           8
        .value_kind:     hidden_global_offset_y
      - .offset:         72
        .size:           8
        .value_kind:     hidden_global_offset_z
      - .offset:         80
        .size:           2
        .value_kind:     hidden_grid_dims
    .group_segment_fixed_size: 4112
    .kernarg_segment_align: 8
    .kernarg_segment_size: 272
    .language:       OpenCL C
    .language_version:
      - 2
      - 0
    .max_flat_workgroup_size: 256
    .name:           _Z15sort_key_kernelILj256ELj7ELb0ELb0EtEvPT3_jj
    .private_segment_fixed_size: 0
    .sgpr_count:     44
    .sgpr_spill_count: 0
    .symbol:         _Z15sort_key_kernelILj256ELj7ELb0ELb0EtEvPT3_jj.kd
    .uniform_work_group_size: 1
    .uses_dynamic_stack: false
    .vgpr_count:     59
    .vgpr_spill_count: 0
    .wavefront_size: 64
  - .args:
      - .address_space:  global
        .offset:         0
        .size:           8
        .value_kind:     global_buffer
      - .offset:         8
        .size:           4
        .value_kind:     by_value
      - .offset:         12
        .size:           4
        .value_kind:     by_value
      - .offset:         16
        .size:           4
        .value_kind:     hidden_block_count_x
      - .offset:         20
        .size:           4
        .value_kind:     hidden_block_count_y
      - .offset:         24
        .size:           4
        .value_kind:     hidden_block_count_z
      - .offset:         28
        .size:           2
        .value_kind:     hidden_group_size_x
      - .offset:         30
        .size:           2
        .value_kind:     hidden_group_size_y
      - .offset:         32
        .size:           2
        .value_kind:     hidden_group_size_z
      - .offset:         34
        .size:           2
        .value_kind:     hidden_remainder_x
      - .offset:         36
        .size:           2
        .value_kind:     hidden_remainder_y
      - .offset:         38
        .size:           2
        .value_kind:     hidden_remainder_z
      - .offset:         56
        .size:           8
        .value_kind:     hidden_global_offset_x
      - .offset:         64
        .size:           8
        .value_kind:     hidden_global_offset_y
      - .offset:         72
        .size:           8
        .value_kind:     hidden_global_offset_z
      - .offset:         80
        .size:           2
        .value_kind:     hidden_grid_dims
    .group_segment_fixed_size: 2064
    .kernarg_segment_align: 8
    .kernarg_segment_size: 272
    .language:       OpenCL C
    .language_version:
      - 2
      - 0
    .max_flat_workgroup_size: 128
    .name:           _Z15sort_key_kernelILj128ELj4ELb0ELb0EiEvPT3_jj
    .private_segment_fixed_size: 0
    .sgpr_count:     52
    .sgpr_spill_count: 0
    .symbol:         _Z15sort_key_kernelILj128ELj4ELb0ELb0EiEvPT3_jj.kd
    .uniform_work_group_size: 1
    .uses_dynamic_stack: false
    .vgpr_count:     50
    .vgpr_spill_count: 0
    .wavefront_size: 64
  - .args:
      - .address_space:  global
        .offset:         0
        .size:           8
        .value_kind:     global_buffer
      - .offset:         8
        .size:           4
        .value_kind:     by_value
      - .offset:         12
        .size:           4
        .value_kind:     by_value
      - .offset:         16
        .size:           4
        .value_kind:     hidden_block_count_x
      - .offset:         20
        .size:           4
        .value_kind:     hidden_block_count_y
      - .offset:         24
        .size:           4
        .value_kind:     hidden_block_count_z
      - .offset:         28
        .size:           2
        .value_kind:     hidden_group_size_x
      - .offset:         30
        .size:           2
        .value_kind:     hidden_group_size_y
      - .offset:         32
        .size:           2
        .value_kind:     hidden_group_size_z
      - .offset:         34
        .size:           2
        .value_kind:     hidden_remainder_x
      - .offset:         36
        .size:           2
        .value_kind:     hidden_remainder_y
      - .offset:         38
        .size:           2
        .value_kind:     hidden_remainder_z
      - .offset:         56
        .size:           8
        .value_kind:     hidden_global_offset_x
      - .offset:         64
        .size:           8
        .value_kind:     hidden_global_offset_y
      - .offset:         72
        .size:           8
        .value_kind:     hidden_global_offset_z
      - .offset:         80
        .size:           2
        .value_kind:     hidden_grid_dims
    .group_segment_fixed_size: 1040
    .kernarg_segment_align: 8
    .kernarg_segment_size: 272
    .language:       OpenCL C
    .language_version:
      - 2
      - 0
    .max_flat_workgroup_size: 64
    .name:           _Z15sort_key_kernelILj64ELj2ELb0ELb1EfEvPT3_jj
    .private_segment_fixed_size: 0
    .sgpr_count:     34
    .sgpr_spill_count: 0
    .symbol:         _Z15sort_key_kernelILj64ELj2ELb0ELb1EfEvPT3_jj.kd
    .uniform_work_group_size: 1
    .uses_dynamic_stack: false
    .vgpr_count:     31
    .vgpr_spill_count: 0
    .wavefront_size: 64
  - .args:
      - .address_space:  global
        .offset:         0
        .size:           8
        .value_kind:     global_buffer
      - .offset:         8
        .size:           4
        .value_kind:     by_value
      - .offset:         12
        .size:           4
        .value_kind:     by_value
    .group_segment_fixed_size: 8176
    .kernarg_segment_align: 8
    .kernarg_segment_size: 16
    .language:       OpenCL C
    .language_version:
      - 2
      - 0
    .max_flat_workgroup_size: 255
    .name:           _Z15sort_key_kernelILj255ELj1ELb0ELb0EhEvPT3_jj
    .private_segment_fixed_size: 0
    .sgpr_count:     44
    .sgpr_spill_count: 0
    .symbol:         _Z15sort_key_kernelILj255ELj1ELb0ELb0EhEvPT3_jj.kd
    .uniform_work_group_size: 1
    .uses_dynamic_stack: false
    .vgpr_count:     25
    .vgpr_spill_count: 0
    .wavefront_size: 64
  - .args:
      - .address_space:  global
        .offset:         0
        .size:           8
        .value_kind:     global_buffer
      - .offset:         8
        .size:           4
        .value_kind:     by_value
      - .offset:         12
        .size:           4
        .value_kind:     by_value
    .group_segment_fixed_size: 5200
    .kernarg_segment_align: 8
    .kernarg_segment_size: 16
    .language:       OpenCL C
    .language_version:
      - 2
      - 0
    .max_flat_workgroup_size: 162
    .name:           _Z15sort_key_kernelILj162ELj1ELb1ELb0EjEvPT3_jj
    .private_segment_fixed_size: 0
    .sgpr_count:     46
    .sgpr_spill_count: 0
    .symbol:         _Z15sort_key_kernelILj162ELj1ELb1ELb0EjEvPT3_jj.kd
    .uniform_work_group_size: 1
    .uses_dynamic_stack: false
    .vgpr_count:     25
    .vgpr_spill_count: 0
    .wavefront_size: 64
  - .args:
      - .address_space:  global
        .offset:         0
        .size:           8
        .value_kind:     global_buffer
      - .offset:         8
        .size:           4
        .value_kind:     by_value
      - .offset:         12
        .size:           4
        .value_kind:     by_value
    .group_segment_fixed_size: 16352
    .kernarg_segment_align: 8
    .kernarg_segment_size: 16
    .language:       OpenCL C
    .language_version:
      - 2
      - 0
    .max_flat_workgroup_size: 510
    .name:           _Z15sort_key_kernelILj510ELj1ELb0ELb1ExEvPT3_jj
    .private_segment_fixed_size: 0
    .sgpr_count:     41
    .sgpr_spill_count: 0
    .symbol:         _Z15sort_key_kernelILj510ELj1ELb0ELb1ExEvPT3_jj.kd
    .uniform_work_group_size: 1
    .uses_dynamic_stack: false
    .vgpr_count:     27
    .vgpr_spill_count: 0
    .wavefront_size: 64
  - .args:
      - .address_space:  global
        .offset:         0
        .size:           8
        .value_kind:     global_buffer
      - .offset:         8
        .size:           4
        .value_kind:     by_value
      - .offset:         12
        .size:           4
        .value_kind:     by_value
    .group_segment_fixed_size: 1200
    .kernarg_segment_align: 8
    .kernarg_segment_size: 16
    .language:       OpenCL C
    .language_version:
      - 2
      - 0
    .max_flat_workgroup_size: 37
    .name:           _Z15sort_key_kernelILj37ELj1ELb0ELb0E6__halfEvPT3_jj
    .private_segment_fixed_size: 0
    .sgpr_count:     44
    .sgpr_spill_count: 0
    .symbol:         _Z15sort_key_kernelILj37ELj1ELb0ELb0E6__halfEvPT3_jj.kd
    .uniform_work_group_size: 1
    .uses_dynamic_stack: false
    .vgpr_count:     24
    .vgpr_spill_count: 0
    .wavefront_size: 64
  - .args:
      - .address_space:  global
        .offset:         0
        .size:           8
        .value_kind:     global_buffer
      - .offset:         8
        .size:           4
        .value_kind:     by_value
      - .offset:         12
        .size:           4
        .value_kind:     by_value
    .group_segment_fixed_size: 1200
    .kernarg_segment_align: 8
    .kernarg_segment_size: 16
    .language:       OpenCL C
    .language_version:
      - 2
      - 0
    .max_flat_workgroup_size: 37
    .name:           _Z15sort_key_kernelILj37ELj1ELb0ELb0E12hip_bfloat16EvPT3_jj
    .private_segment_fixed_size: 0
    .sgpr_count:     44
    .sgpr_spill_count: 0
    .symbol:         _Z15sort_key_kernelILj37ELj1ELb0ELb0E12hip_bfloat16EvPT3_jj.kd
    .uniform_work_group_size: 1
    .uses_dynamic_stack: false
    .vgpr_count:     24
    .vgpr_spill_count: 0
    .wavefront_size: 64
  - .args:
      - .address_space:  global
        .offset:         0
        .size:           8
        .value_kind:     global_buffer
      - .offset:         8
        .size:           4
        .value_kind:     by_value
      - .offset:         12
        .size:           4
        .value_kind:     by_value
    .group_segment_fixed_size: 1200
    .kernarg_segment_align: 8
    .kernarg_segment_size: 16
    .language:       OpenCL C
    .language_version:
      - 2
      - 0
    .max_flat_workgroup_size: 37
    .name:           _Z15sort_key_kernelILj37ELj1ELb0ELb0EfEvPT3_jj
    .private_segment_fixed_size: 0
    .sgpr_count:     44
    .sgpr_spill_count: 0
    .symbol:         _Z15sort_key_kernelILj37ELj1ELb0ELb0EfEvPT3_jj.kd
    .uniform_work_group_size: 1
    .uses_dynamic_stack: false
    .vgpr_count:     24
    .vgpr_spill_count: 0
    .wavefront_size: 64
  - .args:
      - .address_space:  global
        .offset:         0
        .size:           8
        .value_kind:     global_buffer
      - .offset:         8
        .size:           4
        .value_kind:     by_value
      - .offset:         12
        .size:           4
        .value_kind:     by_value
    .group_segment_fixed_size: 2096
    .kernarg_segment_align: 8
    .kernarg_segment_size: 16
    .language:       OpenCL C
    .language_version:
      - 2
      - 0
    .max_flat_workgroup_size: 65
    .name:           _Z15sort_key_kernelILj65ELj1ELb0ELb0EdEvPT3_jj
    .private_segment_fixed_size: 0
    .sgpr_count:     51
    .sgpr_spill_count: 0
    .symbol:         _Z15sort_key_kernelILj65ELj1ELb0ELb0EdEvPT3_jj.kd
    .uniform_work_group_size: 1
    .uses_dynamic_stack: false
    .vgpr_count:     28
    .vgpr_spill_count: 0
    .wavefront_size: 64
  - .args:
      - .address_space:  global
        .offset:         0
        .size:           8
        .value_kind:     global_buffer
      - .offset:         8
        .size:           4
        .value_kind:     by_value
      - .offset:         12
        .size:           4
        .value_kind:     by_value
      - .offset:         16
        .size:           4
        .value_kind:     hidden_block_count_x
      - .offset:         20
        .size:           4
        .value_kind:     hidden_block_count_y
      - .offset:         24
        .size:           4
        .value_kind:     hidden_block_count_z
      - .offset:         28
        .size:           2
        .value_kind:     hidden_group_size_x
      - .offset:         30
        .size:           2
        .value_kind:     hidden_group_size_y
      - .offset:         32
        .size:           2
        .value_kind:     hidden_group_size_z
      - .offset:         34
        .size:           2
        .value_kind:     hidden_remainder_x
      - .offset:         36
        .size:           2
        .value_kind:     hidden_remainder_y
      - .offset:         38
        .size:           2
        .value_kind:     hidden_remainder_z
      - .offset:         56
        .size:           8
        .value_kind:     hidden_global_offset_x
      - .offset:         64
        .size:           8
        .value_kind:     hidden_global_offset_y
      - .offset:         72
        .size:           8
        .value_kind:     hidden_global_offset_z
      - .offset:         80
        .size:           2
        .value_kind:     hidden_grid_dims
    .group_segment_fixed_size: 16448
    .kernarg_segment_align: 8
    .kernarg_segment_size: 272
    .language:       OpenCL C
    .language_version:
      - 2
      - 0
    .max_flat_workgroup_size: 1024
    .name:           _Z15sort_key_kernelILj1024ELj1ELb0ELb1EtEvPT3_jj
    .private_segment_fixed_size: 0
    .sgpr_count:     42
    .sgpr_spill_count: 0
    .symbol:         _Z15sort_key_kernelILj1024ELj1ELb0ELb1EtEvPT3_jj.kd
    .uniform_work_group_size: 1
    .uses_dynamic_stack: false
    .vgpr_count:     25
    .vgpr_spill_count: 0
    .wavefront_size: 64
  - .args:
      - .address_space:  global
        .offset:         0
        .size:           8
        .value_kind:     global_buffer
      - .offset:         8
        .size:           4
        .value_kind:     by_value
      - .offset:         12
        .size:           4
        .value_kind:     by_value
      - .offset:         16
        .size:           4
        .value_kind:     hidden_block_count_x
      - .offset:         20
        .size:           4
        .value_kind:     hidden_block_count_y
      - .offset:         24
        .size:           4
        .value_kind:     hidden_block_count_z
      - .offset:         28
        .size:           2
        .value_kind:     hidden_group_size_x
      - .offset:         30
        .size:           2
        .value_kind:     hidden_group_size_y
      - .offset:         32
        .size:           2
        .value_kind:     hidden_group_size_z
      - .offset:         34
        .size:           2
        .value_kind:     hidden_remainder_x
      - .offset:         36
        .size:           2
        .value_kind:     hidden_remainder_y
      - .offset:         38
        .size:           2
        .value_kind:     hidden_remainder_z
      - .offset:         56
        .size:           8
        .value_kind:     hidden_global_offset_x
      - .offset:         64
        .size:           8
        .value_kind:     hidden_global_offset_y
      - .offset:         72
        .size:           8
        .value_kind:     hidden_global_offset_z
      - .offset:         80
        .size:           2
        .value_kind:     hidden_grid_dims
    .group_segment_fixed_size: 4112
    .kernarg_segment_align: 8
    .kernarg_segment_size: 272
    .language:       OpenCL C
    .language_version:
      - 2
      - 0
    .max_flat_workgroup_size: 256
    .name:           _Z15sort_key_kernelILj256ELj1ELb0ELb0EjEvPT3_jj
    .private_segment_fixed_size: 0
    .sgpr_count:     40
    .sgpr_spill_count: 0
    .symbol:         _Z15sort_key_kernelILj256ELj1ELb0ELb0EjEvPT3_jj.kd
    .uniform_work_group_size: 1
    .uses_dynamic_stack: false
    .vgpr_count:     25
    .vgpr_spill_count: 0
    .wavefront_size: 64
  - .args:
      - .address_space:  global
        .offset:         0
        .size:           8
        .value_kind:     global_buffer
      - .offset:         8
        .size:           4
        .value_kind:     by_value
      - .offset:         12
        .size:           4
        .value_kind:     by_value
      - .offset:         16
        .size:           4
        .value_kind:     hidden_block_count_x
      - .offset:         20
        .size:           4
        .value_kind:     hidden_block_count_y
      - .offset:         24
        .size:           4
        .value_kind:     hidden_block_count_z
      - .offset:         28
        .size:           2
        .value_kind:     hidden_group_size_x
      - .offset:         30
        .size:           2
        .value_kind:     hidden_group_size_y
      - .offset:         32
        .size:           2
        .value_kind:     hidden_group_size_z
      - .offset:         34
        .size:           2
        .value_kind:     hidden_remainder_x
      - .offset:         36
        .size:           2
        .value_kind:     hidden_remainder_y
      - .offset:         38
        .size:           2
        .value_kind:     hidden_remainder_z
      - .offset:         56
        .size:           8
        .value_kind:     hidden_global_offset_x
      - .offset:         64
        .size:           8
        .value_kind:     hidden_global_offset_y
      - .offset:         72
        .size:           8
        .value_kind:     hidden_global_offset_z
      - .offset:         80
        .size:           2
        .value_kind:     hidden_grid_dims
    .group_segment_fixed_size: 2064
    .kernarg_segment_align: 8
    .kernarg_segment_size: 272
    .language:       OpenCL C
    .language_version:
      - 2
      - 0
    .max_flat_workgroup_size: 128
    .name:           _Z15sort_key_kernelILj128ELj1ELb0ELb0EiEvPT3_jj
    .private_segment_fixed_size: 0
    .sgpr_count:     40
    .sgpr_spill_count: 0
    .symbol:         _Z15sort_key_kernelILj128ELj1ELb0ELb0EiEvPT3_jj.kd
    .uniform_work_group_size: 1
    .uses_dynamic_stack: false
    .vgpr_count:     27
    .vgpr_spill_count: 0
    .wavefront_size: 64
  - .args:
      - .address_space:  global
        .offset:         0
        .size:           8
        .value_kind:     global_buffer
      - .offset:         8
        .size:           4
        .value_kind:     by_value
      - .offset:         12
        .size:           4
        .value_kind:     by_value
      - .offset:         16
        .size:           4
        .value_kind:     hidden_block_count_x
      - .offset:         20
        .size:           4
        .value_kind:     hidden_block_count_y
      - .offset:         24
        .size:           4
        .value_kind:     hidden_block_count_z
      - .offset:         28
        .size:           2
        .value_kind:     hidden_group_size_x
      - .offset:         30
        .size:           2
        .value_kind:     hidden_group_size_y
      - .offset:         32
        .size:           2
        .value_kind:     hidden_group_size_z
      - .offset:         34
        .size:           2
        .value_kind:     hidden_remainder_x
      - .offset:         36
        .size:           2
        .value_kind:     hidden_remainder_y
      - .offset:         38
        .size:           2
        .value_kind:     hidden_remainder_z
      - .offset:         56
        .size:           8
        .value_kind:     hidden_global_offset_x
      - .offset:         64
        .size:           8
        .value_kind:     hidden_global_offset_y
      - .offset:         72
        .size:           8
        .value_kind:     hidden_global_offset_z
      - .offset:         80
        .size:           2
        .value_kind:     hidden_grid_dims
    .group_segment_fixed_size: 1040
    .kernarg_segment_align: 8
    .kernarg_segment_size: 272
    .language:       OpenCL C
    .language_version:
      - 2
      - 0
    .max_flat_workgroup_size: 64
    .name:           _Z15sort_key_kernelILj64ELj1ELb0ELb0EjEvPT3_jj
    .private_segment_fixed_size: 0
    .sgpr_count:     26
    .sgpr_spill_count: 0
    .symbol:         _Z15sort_key_kernelILj64ELj1ELb0ELb0EjEvPT3_jj.kd
    .uniform_work_group_size: 1
    .uses_dynamic_stack: false
    .vgpr_count:     18
    .vgpr_spill_count: 0
    .wavefront_size: 64
  - .args:
      - .address_space:  global
        .offset:         0
        .size:           8
        .value_kind:     global_buffer
      - .offset:         8
        .size:           4
        .value_kind:     by_value
      - .offset:         12
        .size:           4
        .value_kind:     by_value
      - .offset:         16
        .size:           4
        .value_kind:     hidden_block_count_x
      - .offset:         20
        .size:           4
        .value_kind:     hidden_block_count_y
      - .offset:         24
        .size:           4
        .value_kind:     hidden_block_count_z
      - .offset:         28
        .size:           2
        .value_kind:     hidden_group_size_x
      - .offset:         30
        .size:           2
        .value_kind:     hidden_group_size_y
      - .offset:         32
        .size:           2
        .value_kind:     hidden_group_size_z
      - .offset:         34
        .size:           2
        .value_kind:     hidden_remainder_x
      - .offset:         36
        .size:           2
        .value_kind:     hidden_remainder_y
      - .offset:         38
        .size:           2
        .value_kind:     hidden_remainder_z
      - .offset:         56
        .size:           8
        .value_kind:     hidden_global_offset_x
      - .offset:         64
        .size:           8
        .value_kind:     hidden_global_offset_y
      - .offset:         72
        .size:           8
        .value_kind:     hidden_global_offset_z
      - .offset:         80
        .size:           2
        .value_kind:     hidden_grid_dims
    .group_segment_fixed_size: 1040
    .kernarg_segment_align: 8
    .kernarg_segment_size: 272
    .language:       OpenCL C
    .language_version:
      - 2
      - 0
    .max_flat_workgroup_size: 64
    .name:           _Z15sort_key_kernelILj64ELj1ELb0ELb0EoEvPT3_jj
    .private_segment_fixed_size: 0
    .sgpr_count:     28
    .sgpr_spill_count: 0
    .symbol:         _Z15sort_key_kernelILj64ELj1ELb0ELb0EoEvPT3_jj.kd
    .uniform_work_group_size: 1
    .uses_dynamic_stack: false
    .vgpr_count:     23
    .vgpr_spill_count: 0
    .wavefront_size: 64
  - .args:
      - .address_space:  global
        .offset:         0
        .size:           8
        .value_kind:     global_buffer
      - .offset:         8
        .size:           4
        .value_kind:     by_value
      - .offset:         12
        .size:           4
        .value_kind:     by_value
      - .offset:         16
        .size:           4
        .value_kind:     hidden_block_count_x
      - .offset:         20
        .size:           4
        .value_kind:     hidden_block_count_y
      - .offset:         24
        .size:           4
        .value_kind:     hidden_block_count_z
      - .offset:         28
        .size:           2
        .value_kind:     hidden_group_size_x
      - .offset:         30
        .size:           2
        .value_kind:     hidden_group_size_y
      - .offset:         32
        .size:           2
        .value_kind:     hidden_group_size_z
      - .offset:         34
        .size:           2
        .value_kind:     hidden_remainder_x
      - .offset:         36
        .size:           2
        .value_kind:     hidden_remainder_y
      - .offset:         38
        .size:           2
        .value_kind:     hidden_remainder_z
      - .offset:         56
        .size:           8
        .value_kind:     hidden_global_offset_x
      - .offset:         64
        .size:           8
        .value_kind:     hidden_global_offset_y
      - .offset:         72
        .size:           8
        .value_kind:     hidden_global_offset_z
      - .offset:         80
        .size:           2
        .value_kind:     hidden_grid_dims
    .group_segment_fixed_size: 1040
    .kernarg_segment_align: 8
    .kernarg_segment_size: 272
    .language:       OpenCL C
    .language_version:
      - 2
      - 0
    .max_flat_workgroup_size: 64
    .name:           _Z15sort_key_kernelILj64ELj1ELb0ELb0EnEvPT3_jj
    .private_segment_fixed_size: 0
    .sgpr_count:     32
    .sgpr_spill_count: 0
    .symbol:         _Z15sort_key_kernelILj64ELj1ELb0ELb0EnEvPT3_jj.kd
    .uniform_work_group_size: 1
    .uses_dynamic_stack: false
    .vgpr_count:     23
    .vgpr_spill_count: 0
    .wavefront_size: 64
  - .args:
      - .address_space:  global
        .offset:         0
        .size:           8
        .value_kind:     global_buffer
      - .address_space:  global
        .offset:         8
        .size:           8
        .value_kind:     global_buffer
      - .offset:         16
        .size:           4
        .value_kind:     by_value
      - .offset:         20
        .size:           4
        .value_kind:     by_value
    .group_segment_fixed_size: 8176
    .kernarg_segment_align: 8
    .kernarg_segment_size: 24
    .language:       OpenCL C
    .language_version:
      - 2
      - 0
    .max_flat_workgroup_size: 255
    .name:           _Z21sort_key_value_kernelILj255ELj1ELb1ELb0EN10test_utils16custom_test_typeIhEEfEvPT3_PT4_jj
    .private_segment_fixed_size: 0
    .sgpr_count:     56
    .sgpr_spill_count: 0
    .symbol:         _Z21sort_key_value_kernelILj255ELj1ELb1ELb0EN10test_utils16custom_test_typeIhEEfEvPT3_PT4_jj.kd
    .uniform_work_group_size: 1
    .uses_dynamic_stack: false
    .vgpr_count:     32
    .vgpr_spill_count: 0
    .wavefront_size: 64
  - .args:
      - .address_space:  global
        .offset:         0
        .size:           8
        .value_kind:     global_buffer
      - .address_space:  global
        .offset:         8
        .size:           8
        .value_kind:     global_buffer
      - .offset:         16
        .size:           4
        .value_kind:     by_value
      - .offset:         20
        .size:           4
        .value_kind:     by_value
    .group_segment_fixed_size: 4144
    .kernarg_segment_align: 8
    .kernarg_segment_size: 24
    .language:       OpenCL C
    .language_version:
      - 2
      - 0
    .max_flat_workgroup_size: 129
    .name:           _Z21sort_key_value_kernelILj129ELj2ELb0ELb1EN10test_utils16custom_test_typeIfEEiEvPT3_PT4_jj
    .private_segment_fixed_size: 0
    .sgpr_count:     59
    .sgpr_spill_count: 0
    .symbol:         _Z21sort_key_value_kernelILj129ELj2ELb0ELb1EN10test_utils16custom_test_typeIfEEiEvPT3_PT4_jj.kd
    .uniform_work_group_size: 1
    .uses_dynamic_stack: false
    .vgpr_count:     39
    .vgpr_spill_count: 0
    .wavefront_size: 64
  - .args:
      - .address_space:  global
        .offset:         0
        .size:           8
        .value_kind:     global_buffer
      - .address_space:  global
        .offset:         8
        .size:           8
        .value_kind:     global_buffer
      - .offset:         16
        .size:           4
        .value_kind:     by_value
      - .offset:         20
        .size:           4
        .value_kind:     by_value
      - .offset:         24
        .size:           4
        .value_kind:     hidden_block_count_x
      - .offset:         28
        .size:           4
        .value_kind:     hidden_block_count_y
      - .offset:         32
        .size:           4
        .value_kind:     hidden_block_count_z
      - .offset:         36
        .size:           2
        .value_kind:     hidden_group_size_x
      - .offset:         38
        .size:           2
        .value_kind:     hidden_group_size_y
      - .offset:         40
        .size:           2
        .value_kind:     hidden_group_size_z
      - .offset:         42
        .size:           2
        .value_kind:     hidden_remainder_x
      - .offset:         44
        .size:           2
        .value_kind:     hidden_remainder_y
      - .offset:         46
        .size:           2
        .value_kind:     hidden_remainder_z
      - .offset:         64
        .size:           8
        .value_kind:     hidden_global_offset_x
      - .offset:         72
        .size:           8
        .value_kind:     hidden_global_offset_y
      - .offset:         80
        .size:           8
        .value_kind:     hidden_global_offset_z
      - .offset:         88
        .size:           2
        .value_kind:     hidden_grid_dims
    .group_segment_fixed_size: 2064
    .kernarg_segment_align: 8
    .kernarg_segment_size: 280
    .language:       OpenCL C
    .language_version:
      - 2
      - 0
    .max_flat_workgroup_size: 128
    .name:           _Z21sort_key_value_kernelILj128ELj4ELb0ELb0EN10test_utils16custom_test_typeIsEEiEvPT3_PT4_jj
    .private_segment_fixed_size: 0
    .sgpr_count:     61
    .sgpr_spill_count: 0
    .symbol:         _Z21sort_key_value_kernelILj128ELj4ELb0ELb0EN10test_utils16custom_test_typeIsEEiEvPT3_PT4_jj.kd
    .uniform_work_group_size: 1
    .uses_dynamic_stack: false
    .vgpr_count:     62
    .vgpr_spill_count: 0
    .wavefront_size: 64
  - .args:
      - .address_space:  global
        .offset:         0
        .size:           8
        .value_kind:     global_buffer
      - .address_space:  global
        .offset:         8
        .size:           8
        .value_kind:     global_buffer
      - .offset:         16
        .size:           4
        .value_kind:     by_value
      - .offset:         20
        .size:           4
        .value_kind:     by_value
    .group_segment_fixed_size: 1936
    .kernarg_segment_align: 8
    .kernarg_segment_size: 24
    .language:       OpenCL C
    .language_version:
      - 2
      - 0
    .max_flat_workgroup_size: 60
    .name:           _Z21sort_key_value_kernelILj60ELj1ELb0ELb1EtdEvPT3_PT4_jj
    .private_segment_fixed_size: 0
    .sgpr_count:     46
    .sgpr_spill_count: 0
    .symbol:         _Z21sort_key_value_kernelILj60ELj1ELb0ELb1EtdEvPT3_PT4_jj.kd
    .uniform_work_group_size: 1
    .uses_dynamic_stack: false
    .vgpr_count:     29
    .vgpr_spill_count: 0
    .wavefront_size: 64
  - .args:
      - .address_space:  global
        .offset:         0
        .size:           8
        .value_kind:     global_buffer
      - .address_space:  global
        .offset:         8
        .size:           8
        .value_kind:     global_buffer
      - .offset:         16
        .size:           4
        .value_kind:     by_value
      - .offset:         20
        .size:           4
        .value_kind:     by_value
      - .offset:         24
        .size:           4
        .value_kind:     hidden_block_count_x
      - .offset:         28
        .size:           4
        .value_kind:     hidden_block_count_y
      - .offset:         32
        .size:           4
        .value_kind:     hidden_block_count_z
      - .offset:         36
        .size:           2
        .value_kind:     hidden_group_size_x
      - .offset:         38
        .size:           2
        .value_kind:     hidden_group_size_y
      - .offset:         40
        .size:           2
        .value_kind:     hidden_group_size_z
      - .offset:         42
        .size:           2
        .value_kind:     hidden_remainder_x
      - .offset:         44
        .size:           2
        .value_kind:     hidden_remainder_y
      - .offset:         46
        .size:           2
        .value_kind:     hidden_remainder_z
      - .offset:         64
        .size:           8
        .value_kind:     hidden_global_offset_x
      - .offset:         72
        .size:           8
        .value_kind:     hidden_global_offset_y
      - .offset:         80
        .size:           8
        .value_kind:     hidden_global_offset_z
      - .offset:         88
        .size:           2
        .value_kind:     hidden_grid_dims
    .group_segment_fixed_size: 8224
    .kernarg_segment_align: 8
    .kernarg_segment_size: 280
    .language:       OpenCL C
    .language_version:
      - 2
      - 0
    .max_flat_workgroup_size: 512
    .name:           _Z21sort_key_value_kernelILj512ELj2ELb1ELb0EhiEvPT3_PT4_jj
    .private_segment_fixed_size: 0
    .sgpr_count:     50
    .sgpr_spill_count: 0
    .symbol:         _Z21sort_key_value_kernelILj512ELj2ELb1ELb0EhiEvPT3_PT4_jj.kd
    .uniform_work_group_size: 1
    .uses_dynamic_stack: false
    .vgpr_count:     41
    .vgpr_spill_count: 0
    .wavefront_size: 64
  - .args:
      - .address_space:  global
        .offset:         0
        .size:           8
        .value_kind:     global_buffer
      - .address_space:  global
        .offset:         8
        .size:           8
        .value_kind:     global_buffer
      - .offset:         16
        .size:           4
        .value_kind:     by_value
      - .offset:         20
        .size:           4
        .value_kind:     by_value
    .group_segment_fixed_size: 5200
    .kernarg_segment_align: 8
    .kernarg_segment_size: 24
    .language:       OpenCL C
    .language_version:
      - 2
      - 0
    .max_flat_workgroup_size: 162
    .name:           _Z21sort_key_value_kernelILj162ELj2ELb1ELb1EjsEvPT3_PT4_jj
    .private_segment_fixed_size: 0
    .sgpr_count:     52
    .sgpr_spill_count: 0
    .symbol:         _Z21sort_key_value_kernelILj162ELj2ELb1ELb1EjsEvPT3_PT4_jj.kd
    .uniform_work_group_size: 1
    .uses_dynamic_stack: false
    .vgpr_count:     29
    .vgpr_spill_count: 0
    .wavefront_size: 64
  - .args:
      - .address_space:  global
        .offset:         0
        .size:           8
        .value_kind:     global_buffer
      - .address_space:  global
        .offset:         8
        .size:           8
        .value_kind:     global_buffer
      - .offset:         16
        .size:           4
        .value_kind:     by_value
      - .offset:         20
        .size:           4
        .value_kind:     by_value
    .group_segment_fixed_size: 3280
    .kernarg_segment_align: 8
    .kernarg_segment_size: 24
    .language:       OpenCL C
    .language_version:
      - 2
      - 0
    .max_flat_workgroup_size: 102
    .name:           _Z21sort_key_value_kernelILj102ELj3ELb0ELb1EtiEvPT3_PT4_jj
    .private_segment_fixed_size: 0
    .sgpr_count:     52
    .sgpr_spill_count: 0
    .symbol:         _Z21sort_key_value_kernelILj102ELj3ELb0ELb1EtiEvPT3_PT4_jj.kd
    .uniform_work_group_size: 1
    .uses_dynamic_stack: false
    .vgpr_count:     43
    .vgpr_spill_count: 0
    .wavefront_size: 64
  - .args:
      - .address_space:  global
        .offset:         0
        .size:           8
        .value_kind:     global_buffer
      - .address_space:  global
        .offset:         8
        .size:           8
        .value_kind:     global_buffer
      - .offset:         16
        .size:           4
        .value_kind:     by_value
      - .offset:         20
        .size:           4
        .value_kind:     by_value
      - .offset:         24
        .size:           4
        .value_kind:     hidden_block_count_x
      - .offset:         28
        .size:           4
        .value_kind:     hidden_block_count_y
      - .offset:         32
        .size:           4
        .value_kind:     hidden_block_count_z
      - .offset:         36
        .size:           2
        .value_kind:     hidden_group_size_x
      - .offset:         38
        .size:           2
        .value_kind:     hidden_group_size_y
      - .offset:         40
        .size:           2
        .value_kind:     hidden_group_size_z
      - .offset:         42
        .size:           2
        .value_kind:     hidden_remainder_x
      - .offset:         44
        .size:           2
        .value_kind:     hidden_remainder_y
      - .offset:         46
        .size:           2
        .value_kind:     hidden_remainder_z
      - .offset:         64
        .size:           8
        .value_kind:     hidden_global_offset_x
      - .offset:         72
        .size:           8
        .value_kind:     hidden_global_offset_y
      - .offset:         80
        .size:           8
        .value_kind:     hidden_global_offset_z
      - .offset:         88
        .size:           2
        .value_kind:     hidden_grid_dims
    .group_segment_fixed_size: 1040
    .kernarg_segment_align: 8
    .kernarg_segment_size: 280
    .language:       OpenCL C
    .language_version:
      - 2
      - 0
    .max_flat_workgroup_size: 64
    .name:           _Z21sort_key_value_kernelILj64ELj1ELb0ELb0EycEvPT3_PT4_jj
    .private_segment_fixed_size: 0
    .sgpr_count:     30
    .sgpr_spill_count: 0
    .symbol:         _Z21sort_key_value_kernelILj64ELj1ELb0ELb0EycEvPT3_PT4_jj.kd
    .uniform_work_group_size: 1
    .uses_dynamic_stack: false
    .vgpr_count:     24
    .vgpr_spill_count: 0
    .wavefront_size: 64
  - .args:
      - .address_space:  global
        .offset:         0
        .size:           8
        .value_kind:     global_buffer
      - .address_space:  global
        .offset:         8
        .size:           8
        .value_kind:     global_buffer
      - .offset:         16
        .size:           4
        .value_kind:     by_value
      - .offset:         20
        .size:           4
        .value_kind:     by_value
    .group_segment_fixed_size: 8432
    .kernarg_segment_align: 8
    .kernarg_segment_size: 24
    .language:       OpenCL C
    .language_version:
      - 2
      - 0
    .max_flat_workgroup_size: 234
    .name:           _Z21sort_key_value_kernelILj234ELj9ELb0ELb0EsiEvPT3_PT4_jj
    .private_segment_fixed_size: 0
    .sgpr_count:     46
    .sgpr_spill_count: 0
    .symbol:         _Z21sort_key_value_kernelILj234ELj9ELb0ELb0EsiEvPT3_PT4_jj.kd
    .uniform_work_group_size: 1
    .uses_dynamic_stack: false
    .vgpr_count:     78
    .vgpr_spill_count: 0
    .wavefront_size: 64
  - .args:
      - .address_space:  global
        .offset:         0
        .size:           8
        .value_kind:     global_buffer
      - .address_space:  global
        .offset:         8
        .size:           8
        .value_kind:     global_buffer
      - .offset:         16
        .size:           4
        .value_kind:     by_value
      - .offset:         20
        .size:           4
        .value_kind:     by_value
    .group_segment_fixed_size: 3216
    .kernarg_segment_align: 8
    .kernarg_segment_size: 24
    .language:       OpenCL C
    .language_version:
      - 2
      - 0
    .max_flat_workgroup_size: 100
    .name:           _Z21sort_key_value_kernelILj100ELj3ELb0ELb0EtiEvPT3_PT4_jj
    .private_segment_fixed_size: 0
    .sgpr_count:     52
    .sgpr_spill_count: 0
    .symbol:         _Z21sort_key_value_kernelILj100ELj3ELb0ELb0EtiEvPT3_PT4_jj.kd
    .uniform_work_group_size: 1
    .uses_dynamic_stack: false
    .vgpr_count:     43
    .vgpr_spill_count: 0
    .wavefront_size: 64
  - .args:
      - .address_space:  global
        .offset:         0
        .size:           8
        .value_kind:     global_buffer
      - .address_space:  global
        .offset:         8
        .size:           8
        .value_kind:     global_buffer
      - .offset:         16
        .size:           4
        .value_kind:     by_value
      - .offset:         20
        .size:           4
        .value_kind:     by_value
    .group_segment_fixed_size: 14880
    .kernarg_segment_align: 8
    .kernarg_segment_size: 24
    .language:       OpenCL C
    .language_version:
      - 2
      - 0
    .max_flat_workgroup_size: 464
    .name:           _Z21sort_key_value_kernelILj464ELj2ELb1ELb1EcdEvPT3_PT4_jj
    .private_segment_fixed_size: 0
    .sgpr_count:     46
    .sgpr_spill_count: 0
    .symbol:         _Z21sort_key_value_kernelILj464ELj2ELb1ELb1EcdEvPT3_PT4_jj.kd
    .uniform_work_group_size: 1
    .uses_dynamic_stack: false
    .vgpr_count:     38
    .vgpr_spill_count: 0
    .wavefront_size: 64
  - .args:
      - .address_space:  global
        .offset:         0
        .size:           8
        .value_kind:     global_buffer
      - .address_space:  global
        .offset:         8
        .size:           8
        .value_kind:     global_buffer
      - .offset:         16
        .size:           4
        .value_kind:     by_value
      - .offset:         20
        .size:           4
        .value_kind:     by_value
    .group_segment_fixed_size: 1328
    .kernarg_segment_align: 8
    .kernarg_segment_size: 24
    .language:       OpenCL C
    .language_version:
      - 2
      - 0
    .max_flat_workgroup_size: 33
    .name:           _Z21sort_key_value_kernelILj33ELj5ELb0ELb0EdiEvPT3_PT4_jj
    .private_segment_fixed_size: 0
    .sgpr_count:     48
    .sgpr_spill_count: 0
    .symbol:         _Z21sort_key_value_kernelILj33ELj5ELb0ELb0EdiEvPT3_PT4_jj.kd
    .uniform_work_group_size: 1
    .uses_dynamic_stack: false
    .vgpr_count:     67
    .vgpr_spill_count: 0
    .wavefront_size: 64
  - .args:
      - .address_space:  global
        .offset:         0
        .size:           8
        .value_kind:     global_buffer
      - .address_space:  global
        .offset:         8
        .size:           8
        .value_kind:     global_buffer
      - .offset:         16
        .size:           4
        .value_kind:     by_value
      - .offset:         20
        .size:           4
        .value_kind:     by_value
      - .offset:         24
        .size:           4
        .value_kind:     hidden_block_count_x
      - .offset:         28
        .size:           4
        .value_kind:     hidden_block_count_y
      - .offset:         32
        .size:           4
        .value_kind:     hidden_block_count_z
      - .offset:         36
        .size:           2
        .value_kind:     hidden_group_size_x
      - .offset:         38
        .size:           2
        .value_kind:     hidden_group_size_y
      - .offset:         40
        .size:           2
        .value_kind:     hidden_group_size_z
      - .offset:         42
        .size:           2
        .value_kind:     hidden_remainder_x
      - .offset:         44
        .size:           2
        .value_kind:     hidden_remainder_y
      - .offset:         46
        .size:           2
        .value_kind:     hidden_remainder_z
      - .offset:         64
        .size:           8
        .value_kind:     hidden_global_offset_x
      - .offset:         72
        .size:           8
        .value_kind:     hidden_global_offset_y
      - .offset:         80
        .size:           8
        .value_kind:     hidden_global_offset_z
      - .offset:         88
        .size:           2
        .value_kind:     hidden_grid_dims
    .group_segment_fixed_size: 4112
    .kernarg_segment_align: 8
    .kernarg_segment_size: 280
    .language:       OpenCL C
    .language_version:
      - 2
      - 0
    .max_flat_workgroup_size: 256
    .name:           _Z21sort_key_value_kernelILj256ELj7ELb0ELb0EtcEvPT3_PT4_jj
    .private_segment_fixed_size: 0
    .sgpr_count:     46
    .sgpr_spill_count: 0
    .symbol:         _Z21sort_key_value_kernelILj256ELj7ELb0ELb0EtcEvPT3_PT4_jj.kd
    .uniform_work_group_size: 1
    .uses_dynamic_stack: false
    .vgpr_count:     72
    .vgpr_spill_count: 0
    .wavefront_size: 64
  - .args:
      - .address_space:  global
        .offset:         0
        .size:           8
        .value_kind:     global_buffer
      - .address_space:  global
        .offset:         8
        .size:           8
        .value_kind:     global_buffer
      - .offset:         16
        .size:           4
        .value_kind:     by_value
      - .offset:         20
        .size:           4
        .value_kind:     by_value
      - .offset:         24
        .size:           4
        .value_kind:     hidden_block_count_x
      - .offset:         28
        .size:           4
        .value_kind:     hidden_block_count_y
      - .offset:         32
        .size:           4
        .value_kind:     hidden_block_count_z
      - .offset:         36
        .size:           2
        .value_kind:     hidden_group_size_x
      - .offset:         38
        .size:           2
        .value_kind:     hidden_group_size_y
      - .offset:         40
        .size:           2
        .value_kind:     hidden_group_size_z
      - .offset:         42
        .size:           2
        .value_kind:     hidden_remainder_x
      - .offset:         44
        .size:           2
        .value_kind:     hidden_remainder_y
      - .offset:         46
        .size:           2
        .value_kind:     hidden_remainder_z
      - .offset:         64
        .size:           8
        .value_kind:     hidden_global_offset_x
      - .offset:         72
        .size:           8
        .value_kind:     hidden_global_offset_y
      - .offset:         80
        .size:           8
        .value_kind:     hidden_global_offset_z
      - .offset:         88
        .size:           2
        .value_kind:     hidden_grid_dims
    .group_segment_fixed_size: 2064
    .kernarg_segment_align: 8
    .kernarg_segment_size: 280
    .language:       OpenCL C
    .language_version:
      - 2
      - 0
    .max_flat_workgroup_size: 128
    .name:           _Z21sort_key_value_kernelILj128ELj4ELb0ELb0EisEvPT3_PT4_jj
    .private_segment_fixed_size: 0
    .sgpr_count:     54
    .sgpr_spill_count: 0
    .symbol:         _Z21sort_key_value_kernelILj128ELj4ELb0ELb0EisEvPT3_PT4_jj.kd
    .uniform_work_group_size: 1
    .uses_dynamic_stack: false
    .vgpr_count:     59
    .vgpr_spill_count: 0
    .wavefront_size: 64
  - .args:
      - .address_space:  global
        .offset:         0
        .size:           8
        .value_kind:     global_buffer
      - .address_space:  global
        .offset:         8
        .size:           8
        .value_kind:     global_buffer
      - .offset:         16
        .size:           4
        .value_kind:     by_value
      - .offset:         20
        .size:           4
        .value_kind:     by_value
      - .offset:         24
        .size:           4
        .value_kind:     hidden_block_count_x
      - .offset:         28
        .size:           4
        .value_kind:     hidden_block_count_y
      - .offset:         32
        .size:           4
        .value_kind:     hidden_block_count_z
      - .offset:         36
        .size:           2
        .value_kind:     hidden_group_size_x
      - .offset:         38
        .size:           2
        .value_kind:     hidden_group_size_y
      - .offset:         40
        .size:           2
        .value_kind:     hidden_group_size_z
      - .offset:         42
        .size:           2
        .value_kind:     hidden_remainder_x
      - .offset:         44
        .size:           2
        .value_kind:     hidden_remainder_y
      - .offset:         46
        .size:           2
        .value_kind:     hidden_remainder_z
      - .offset:         64
        .size:           8
        .value_kind:     hidden_global_offset_x
      - .offset:         72
        .size:           8
        .value_kind:     hidden_global_offset_y
      - .offset:         80
        .size:           8
        .value_kind:     hidden_global_offset_z
      - .offset:         88
        .size:           2
        .value_kind:     hidden_grid_dims
    .group_segment_fixed_size: 1040
    .kernarg_segment_align: 8
    .kernarg_segment_size: 280
    .language:       OpenCL C
    .language_version:
      - 2
      - 0
    .max_flat_workgroup_size: 64
    .name:           _Z21sort_key_value_kernelILj64ELj2ELb0ELb1EfcEvPT3_PT4_jj
    .private_segment_fixed_size: 0
    .sgpr_count:     36
    .sgpr_spill_count: 0
    .symbol:         _Z21sort_key_value_kernelILj64ELj2ELb0ELb1EfcEvPT3_PT4_jj.kd
    .uniform_work_group_size: 1
    .uses_dynamic_stack: false
    .vgpr_count:     36
    .vgpr_spill_count: 0
    .wavefront_size: 64
  - .args:
      - .address_space:  global
        .offset:         0
        .size:           8
        .value_kind:     global_buffer
      - .address_space:  global
        .offset:         8
        .size:           8
        .value_kind:     global_buffer
      - .offset:         16
        .size:           4
        .value_kind:     by_value
      - .offset:         20
        .size:           4
        .value_kind:     by_value
    .group_segment_fixed_size: 8176
    .kernarg_segment_align: 8
    .kernarg_segment_size: 24
    .language:       OpenCL C
    .language_version:
      - 2
      - 0
    .max_flat_workgroup_size: 255
    .name:           _Z21sort_key_value_kernelILj255ELj1ELb0ELb0EhfEvPT3_PT4_jj
    .private_segment_fixed_size: 0
    .sgpr_count:     46
    .sgpr_spill_count: 0
    .symbol:         _Z21sort_key_value_kernelILj255ELj1ELb0ELb0EhfEvPT3_PT4_jj.kd
    .uniform_work_group_size: 1
    .uses_dynamic_stack: false
    .vgpr_count:     28
    .vgpr_spill_count: 0
    .wavefront_size: 64
  - .args:
      - .address_space:  global
        .offset:         0
        .size:           8
        .value_kind:     global_buffer
      - .address_space:  global
        .offset:         8
        .size:           8
        .value_kind:     global_buffer
      - .offset:         16
        .size:           4
        .value_kind:     by_value
      - .offset:         20
        .size:           4
        .value_kind:     by_value
    .group_segment_fixed_size: 5200
    .kernarg_segment_align: 8
    .kernarg_segment_size: 24
    .language:       OpenCL C
    .language_version:
      - 2
      - 0
    .max_flat_workgroup_size: 162
    .name:           _Z21sort_key_value_kernelILj162ELj1ELb1ELb0EjxEvPT3_PT4_jj
    .private_segment_fixed_size: 0
    .sgpr_count:     50
    .sgpr_spill_count: 0
    .symbol:         _Z21sort_key_value_kernelILj162ELj1ELb1ELb0EjxEvPT3_PT4_jj.kd
    .uniform_work_group_size: 1
    .uses_dynamic_stack: false
    .vgpr_count:     30
    .vgpr_spill_count: 0
    .wavefront_size: 64
  - .args:
      - .address_space:  global
        .offset:         0
        .size:           8
        .value_kind:     global_buffer
      - .address_space:  global
        .offset:         8
        .size:           8
        .value_kind:     global_buffer
      - .offset:         16
        .size:           4
        .value_kind:     by_value
      - .offset:         20
        .size:           4
        .value_kind:     by_value
    .group_segment_fixed_size: 16352
    .kernarg_segment_align: 8
    .kernarg_segment_size: 24
    .language:       OpenCL C
    .language_version:
      - 2
      - 0
    .max_flat_workgroup_size: 510
    .name:           _Z21sort_key_value_kernelILj510ELj1ELb0ELb1ExcEvPT3_PT4_jj
    .private_segment_fixed_size: 0
    .sgpr_count:     44
    .sgpr_spill_count: 0
    .symbol:         _Z21sort_key_value_kernelILj510ELj1ELb0ELb1ExcEvPT3_PT4_jj.kd
    .uniform_work_group_size: 1
    .uses_dynamic_stack: false
    .vgpr_count:     30
    .vgpr_spill_count: 0
    .wavefront_size: 64
  - .args:
      - .address_space:  global
        .offset:         0
        .size:           8
        .value_kind:     global_buffer
      - .address_space:  global
        .offset:         8
        .size:           8
        .value_kind:     global_buffer
      - .offset:         16
        .size:           4
        .value_kind:     by_value
      - .offset:         20
        .size:           4
        .value_kind:     by_value
    .group_segment_fixed_size: 1200
    .kernarg_segment_align: 8
    .kernarg_segment_size: 24
    .language:       OpenCL C
    .language_version:
      - 2
      - 0
    .max_flat_workgroup_size: 37
    .name:           _Z21sort_key_value_kernelILj37ELj1ELb0ELb0E6__halfiEvPT3_PT4_jj
    .private_segment_fixed_size: 0
    .sgpr_count:     46
    .sgpr_spill_count: 0
    .symbol:         _Z21sort_key_value_kernelILj37ELj1ELb0ELb0E6__halfiEvPT3_PT4_jj.kd
    .uniform_work_group_size: 1
    .uses_dynamic_stack: false
    .vgpr_count:     27
    .vgpr_spill_count: 0
    .wavefront_size: 64
  - .args:
      - .address_space:  global
        .offset:         0
        .size:           8
        .value_kind:     global_buffer
      - .address_space:  global
        .offset:         8
        .size:           8
        .value_kind:     global_buffer
      - .offset:         16
        .size:           4
        .value_kind:     by_value
      - .offset:         20
        .size:           4
        .value_kind:     by_value
    .group_segment_fixed_size: 1200
    .kernarg_segment_align: 8
    .kernarg_segment_size: 24
    .language:       OpenCL C
    .language_version:
      - 2
      - 0
    .max_flat_workgroup_size: 37
    .name:           _Z21sort_key_value_kernelILj37ELj1ELb0ELb0E12hip_bfloat16iEvPT3_PT4_jj
    .private_segment_fixed_size: 0
    .sgpr_count:     46
    .sgpr_spill_count: 0
    .symbol:         _Z21sort_key_value_kernelILj37ELj1ELb0ELb0E12hip_bfloat16iEvPT3_PT4_jj.kd
    .uniform_work_group_size: 1
    .uses_dynamic_stack: false
    .vgpr_count:     27
    .vgpr_spill_count: 0
    .wavefront_size: 64
  - .args:
      - .address_space:  global
        .offset:         0
        .size:           8
        .value_kind:     global_buffer
      - .address_space:  global
        .offset:         8
        .size:           8
        .value_kind:     global_buffer
      - .offset:         16
        .size:           4
        .value_kind:     by_value
      - .offset:         20
        .size:           4
        .value_kind:     by_value
    .group_segment_fixed_size: 1200
    .kernarg_segment_align: 8
    .kernarg_segment_size: 24
    .language:       OpenCL C
    .language_version:
      - 2
      - 0
    .max_flat_workgroup_size: 37
    .name:           _Z21sort_key_value_kernelILj37ELj1ELb0ELb0EfiEvPT3_PT4_jj
    .private_segment_fixed_size: 0
    .sgpr_count:     46
    .sgpr_spill_count: 0
    .symbol:         _Z21sort_key_value_kernelILj37ELj1ELb0ELb0EfiEvPT3_PT4_jj.kd
    .uniform_work_group_size: 1
    .uses_dynamic_stack: false
    .vgpr_count:     27
    .vgpr_spill_count: 0
    .wavefront_size: 64
  - .args:
      - .address_space:  global
        .offset:         0
        .size:           8
        .value_kind:     global_buffer
      - .address_space:  global
        .offset:         8
        .size:           8
        .value_kind:     global_buffer
      - .offset:         16
        .size:           4
        .value_kind:     by_value
      - .offset:         20
        .size:           4
        .value_kind:     by_value
    .group_segment_fixed_size: 2096
    .kernarg_segment_align: 8
    .kernarg_segment_size: 24
    .language:       OpenCL C
    .language_version:
      - 2
      - 0
    .max_flat_workgroup_size: 65
    .name:           _Z21sort_key_value_kernelILj65ELj1ELb0ELb0EdjEvPT3_PT4_jj
    .private_segment_fixed_size: 0
    .sgpr_count:     54
    .sgpr_spill_count: 0
    .symbol:         _Z21sort_key_value_kernelILj65ELj1ELb0ELb0EdjEvPT3_PT4_jj.kd
    .uniform_work_group_size: 1
    .uses_dynamic_stack: false
    .vgpr_count:     32
    .vgpr_spill_count: 0
    .wavefront_size: 64
  - .args:
      - .address_space:  global
        .offset:         0
        .size:           8
        .value_kind:     global_buffer
      - .address_space:  global
        .offset:         8
        .size:           8
        .value_kind:     global_buffer
      - .offset:         16
        .size:           4
        .value_kind:     by_value
      - .offset:         20
        .size:           4
        .value_kind:     by_value
      - .offset:         24
        .size:           4
        .value_kind:     hidden_block_count_x
      - .offset:         28
        .size:           4
        .value_kind:     hidden_block_count_y
      - .offset:         32
        .size:           4
        .value_kind:     hidden_block_count_z
      - .offset:         36
        .size:           2
        .value_kind:     hidden_group_size_x
      - .offset:         38
        .size:           2
        .value_kind:     hidden_group_size_y
      - .offset:         40
        .size:           2
        .value_kind:     hidden_group_size_z
      - .offset:         42
        .size:           2
        .value_kind:     hidden_remainder_x
      - .offset:         44
        .size:           2
        .value_kind:     hidden_remainder_y
      - .offset:         46
        .size:           2
        .value_kind:     hidden_remainder_z
      - .offset:         64
        .size:           8
        .value_kind:     hidden_global_offset_x
      - .offset:         72
        .size:           8
        .value_kind:     hidden_global_offset_y
      - .offset:         80
        .size:           8
        .value_kind:     hidden_global_offset_z
      - .offset:         88
        .size:           2
        .value_kind:     hidden_grid_dims
    .group_segment_fixed_size: 16448
    .kernarg_segment_align: 8
    .kernarg_segment_size: 280
    .language:       OpenCL C
    .language_version:
      - 2
      - 0
    .max_flat_workgroup_size: 1024
    .name:           _Z21sort_key_value_kernelILj1024ELj1ELb0ELb1EtcEvPT3_PT4_jj
    .private_segment_fixed_size: 0
    .sgpr_count:     42
    .sgpr_spill_count: 0
    .symbol:         _Z21sort_key_value_kernelILj1024ELj1ELb0ELb1EtcEvPT3_PT4_jj.kd
    .uniform_work_group_size: 1
    .uses_dynamic_stack: false
    .vgpr_count:     29
    .vgpr_spill_count: 0
    .wavefront_size: 64
  - .args:
      - .address_space:  global
        .offset:         0
        .size:           8
        .value_kind:     global_buffer
      - .address_space:  global
        .offset:         8
        .size:           8
        .value_kind:     global_buffer
      - .offset:         16
        .size:           4
        .value_kind:     by_value
      - .offset:         20
        .size:           4
        .value_kind:     by_value
      - .offset:         24
        .size:           4
        .value_kind:     hidden_block_count_x
      - .offset:         28
        .size:           4
        .value_kind:     hidden_block_count_y
      - .offset:         32
        .size:           4
        .value_kind:     hidden_block_count_z
      - .offset:         36
        .size:           2
        .value_kind:     hidden_group_size_x
      - .offset:         38
        .size:           2
        .value_kind:     hidden_group_size_y
      - .offset:         40
        .size:           2
        .value_kind:     hidden_group_size_z
      - .offset:         42
        .size:           2
        .value_kind:     hidden_remainder_x
      - .offset:         44
        .size:           2
        .value_kind:     hidden_remainder_y
      - .offset:         46
        .size:           2
        .value_kind:     hidden_remainder_z
      - .offset:         64
        .size:           8
        .value_kind:     hidden_global_offset_x
      - .offset:         72
        .size:           8
        .value_kind:     hidden_global_offset_y
      - .offset:         80
        .size:           8
        .value_kind:     hidden_global_offset_z
      - .offset:         88
        .size:           2
        .value_kind:     hidden_grid_dims
    .group_segment_fixed_size: 4112
    .kernarg_segment_align: 8
    .kernarg_segment_size: 280
    .language:       OpenCL C
    .language_version:
      - 2
      - 0
    .max_flat_workgroup_size: 256
    .name:           _Z21sort_key_value_kernelILj256ELj1ELb0ELb0EjiEvPT3_PT4_jj
    .private_segment_fixed_size: 0
    .sgpr_count:     42
    .sgpr_spill_count: 0
    .symbol:         _Z21sort_key_value_kernelILj256ELj1ELb0ELb0EjiEvPT3_PT4_jj.kd
    .uniform_work_group_size: 1
    .uses_dynamic_stack: false
    .vgpr_count:     28
    .vgpr_spill_count: 0
    .wavefront_size: 64
  - .args:
      - .address_space:  global
        .offset:         0
        .size:           8
        .value_kind:     global_buffer
      - .address_space:  global
        .offset:         8
        .size:           8
        .value_kind:     global_buffer
      - .offset:         16
        .size:           4
        .value_kind:     by_value
      - .offset:         20
        .size:           4
        .value_kind:     by_value
      - .offset:         24
        .size:           4
        .value_kind:     hidden_block_count_x
      - .offset:         28
        .size:           4
        .value_kind:     hidden_block_count_y
      - .offset:         32
        .size:           4
        .value_kind:     hidden_block_count_z
      - .offset:         36
        .size:           2
        .value_kind:     hidden_group_size_x
      - .offset:         38
        .size:           2
        .value_kind:     hidden_group_size_y
      - .offset:         40
        .size:           2
        .value_kind:     hidden_group_size_z
      - .offset:         42
        .size:           2
        .value_kind:     hidden_remainder_x
      - .offset:         44
        .size:           2
        .value_kind:     hidden_remainder_y
      - .offset:         46
        .size:           2
        .value_kind:     hidden_remainder_z
      - .offset:         64
        .size:           8
        .value_kind:     hidden_global_offset_x
      - .offset:         72
        .size:           8
        .value_kind:     hidden_global_offset_y
      - .offset:         80
        .size:           8
        .value_kind:     hidden_global_offset_z
      - .offset:         88
        .size:           2
        .value_kind:     hidden_grid_dims
    .group_segment_fixed_size: 2064
    .kernarg_segment_align: 8
    .kernarg_segment_size: 280
    .language:       OpenCL C
    .language_version:
      - 2
      - 0
    .max_flat_workgroup_size: 128
    .name:           _Z21sort_key_value_kernelILj128ELj1ELb0ELb0EiiEvPT3_PT4_jj
    .private_segment_fixed_size: 0
    .sgpr_count:     42
    .sgpr_spill_count: 0
    .symbol:         _Z21sort_key_value_kernelILj128ELj1ELb0ELb0EiiEvPT3_PT4_jj.kd
    .uniform_work_group_size: 1
    .uses_dynamic_stack: false
    .vgpr_count:     30
    .vgpr_spill_count: 0
    .wavefront_size: 64
  - .args:
      - .address_space:  global
        .offset:         0
        .size:           8
        .value_kind:     global_buffer
      - .address_space:  global
        .offset:         8
        .size:           8
        .value_kind:     global_buffer
      - .offset:         16
        .size:           4
        .value_kind:     by_value
      - .offset:         20
        .size:           4
        .value_kind:     by_value
      - .offset:         24
        .size:           4
        .value_kind:     hidden_block_count_x
      - .offset:         28
        .size:           4
        .value_kind:     hidden_block_count_y
      - .offset:         32
        .size:           4
        .value_kind:     hidden_block_count_z
      - .offset:         36
        .size:           2
        .value_kind:     hidden_group_size_x
      - .offset:         38
        .size:           2
        .value_kind:     hidden_group_size_y
      - .offset:         40
        .size:           2
        .value_kind:     hidden_group_size_z
      - .offset:         42
        .size:           2
        .value_kind:     hidden_remainder_x
      - .offset:         44
        .size:           2
        .value_kind:     hidden_remainder_y
      - .offset:         46
        .size:           2
        .value_kind:     hidden_remainder_z
      - .offset:         64
        .size:           8
        .value_kind:     hidden_global_offset_x
      - .offset:         72
        .size:           8
        .value_kind:     hidden_global_offset_y
      - .offset:         80
        .size:           8
        .value_kind:     hidden_global_offset_z
      - .offset:         88
        .size:           2
        .value_kind:     hidden_grid_dims
    .group_segment_fixed_size: 1040
    .kernarg_segment_align: 8
    .kernarg_segment_size: 280
    .language:       OpenCL C
    .language_version:
      - 2
      - 0
    .max_flat_workgroup_size: 64
    .name:           _Z21sort_key_value_kernelILj64ELj1ELb0ELb0EjiEvPT3_PT4_jj
    .private_segment_fixed_size: 0
    .sgpr_count:     30
    .sgpr_spill_count: 0
    .symbol:         _Z21sort_key_value_kernelILj64ELj1ELb0ELb0EjiEvPT3_PT4_jj.kd
    .uniform_work_group_size: 1
    .uses_dynamic_stack: false
    .vgpr_count:     21
    .vgpr_spill_count: 0
    .wavefront_size: 64
  - .args:
      - .address_space:  global
        .offset:         0
        .size:           8
        .value_kind:     global_buffer
      - .address_space:  global
        .offset:         8
        .size:           8
        .value_kind:     global_buffer
      - .offset:         16
        .size:           4
        .value_kind:     by_value
      - .offset:         20
        .size:           4
        .value_kind:     by_value
      - .offset:         24
        .size:           4
        .value_kind:     hidden_block_count_x
      - .offset:         28
        .size:           4
        .value_kind:     hidden_block_count_y
      - .offset:         32
        .size:           4
        .value_kind:     hidden_block_count_z
      - .offset:         36
        .size:           2
        .value_kind:     hidden_group_size_x
      - .offset:         38
        .size:           2
        .value_kind:     hidden_group_size_y
      - .offset:         40
        .size:           2
        .value_kind:     hidden_group_size_z
      - .offset:         42
        .size:           2
        .value_kind:     hidden_remainder_x
      - .offset:         44
        .size:           2
        .value_kind:     hidden_remainder_y
      - .offset:         46
        .size:           2
        .value_kind:     hidden_remainder_z
      - .offset:         64
        .size:           8
        .value_kind:     hidden_global_offset_x
      - .offset:         72
        .size:           8
        .value_kind:     hidden_global_offset_y
      - .offset:         80
        .size:           8
        .value_kind:     hidden_global_offset_z
      - .offset:         88
        .size:           2
        .value_kind:     hidden_grid_dims
    .group_segment_fixed_size: 1040
    .kernarg_segment_align: 8
    .kernarg_segment_size: 280
    .language:       OpenCL C
    .language_version:
      - 2
      - 0
    .max_flat_workgroup_size: 64
    .name:           _Z21sort_key_value_kernelILj64ELj1ELb0ELb0EooEvPT3_PT4_jj
    .private_segment_fixed_size: 0
    .sgpr_count:     30
    .sgpr_spill_count: 0
    .symbol:         _Z21sort_key_value_kernelILj64ELj1ELb0ELb0EooEvPT3_PT4_jj.kd
    .uniform_work_group_size: 1
    .uses_dynamic_stack: false
    .vgpr_count:     35
    .vgpr_spill_count: 0
    .wavefront_size: 64
  - .args:
      - .address_space:  global
        .offset:         0
        .size:           8
        .value_kind:     global_buffer
      - .address_space:  global
        .offset:         8
        .size:           8
        .value_kind:     global_buffer
      - .offset:         16
        .size:           4
        .value_kind:     by_value
      - .offset:         20
        .size:           4
        .value_kind:     by_value
      - .offset:         24
        .size:           4
        .value_kind:     hidden_block_count_x
      - .offset:         28
        .size:           4
        .value_kind:     hidden_block_count_y
      - .offset:         32
        .size:           4
        .value_kind:     hidden_block_count_z
      - .offset:         36
        .size:           2
        .value_kind:     hidden_group_size_x
      - .offset:         38
        .size:           2
        .value_kind:     hidden_group_size_y
      - .offset:         40
        .size:           2
        .value_kind:     hidden_group_size_z
      - .offset:         42
        .size:           2
        .value_kind:     hidden_remainder_x
      - .offset:         44
        .size:           2
        .value_kind:     hidden_remainder_y
      - .offset:         46
        .size:           2
        .value_kind:     hidden_remainder_z
      - .offset:         64
        .size:           8
        .value_kind:     hidden_global_offset_x
      - .offset:         72
        .size:           8
        .value_kind:     hidden_global_offset_y
      - .offset:         80
        .size:           8
        .value_kind:     hidden_global_offset_z
      - .offset:         88
        .size:           2
        .value_kind:     hidden_grid_dims
    .group_segment_fixed_size: 1040
    .kernarg_segment_align: 8
    .kernarg_segment_size: 280
    .language:       OpenCL C
    .language_version:
      - 2
      - 0
    .max_flat_workgroup_size: 64
    .name:           _Z21sort_key_value_kernelILj64ELj1ELb0ELb0EnnEvPT3_PT4_jj
    .private_segment_fixed_size: 0
    .sgpr_count:     33
    .sgpr_spill_count: 0
    .symbol:         _Z21sort_key_value_kernelILj64ELj1ELb0ELb0EnnEvPT3_PT4_jj.kd
    .uniform_work_group_size: 1
    .uses_dynamic_stack: false
    .vgpr_count:     35
    .vgpr_spill_count: 0
    .wavefront_size: 64
amdhsa.target:   amdgcn-amd-amdhsa--gfx906
amdhsa.version:
  - 1
  - 2
...

	.end_amdgpu_metadata
